;; amdgpu-corpus repo=ROCm/rocFFT kind=compiled arch=gfx1201 opt=O3
	.text
	.amdgcn_target "amdgcn-amd-amdhsa--gfx1201"
	.amdhsa_code_object_version 6
	.protected	bluestein_single_fwd_len425_dim1_sp_op_CI_CI ; -- Begin function bluestein_single_fwd_len425_dim1_sp_op_CI_CI
	.globl	bluestein_single_fwd_len425_dim1_sp_op_CI_CI
	.p2align	8
	.type	bluestein_single_fwd_len425_dim1_sp_op_CI_CI,@function
bluestein_single_fwd_len425_dim1_sp_op_CI_CI: ; @bluestein_single_fwd_len425_dim1_sp_op_CI_CI
; %bb.0:
	s_load_b128 s[12:15], s[0:1], 0x28
	v_mul_u32_u24_e32 v1, 0xf10, v0
	s_mov_b32 s2, exec_lo
	s_delay_alu instid0(VALU_DEP_1) | instskip(NEXT) | instid1(VALU_DEP_1)
	v_lshrrev_b32_e32 v1, 16, v1
	v_mad_co_u64_u32 v[153:154], null, ttmp9, 3, v[1:2]
	v_mov_b32_e32 v154, 0
	s_wait_kmcnt 0x0
	s_delay_alu instid0(VALU_DEP_1)
	v_cmpx_gt_u64_e64 s[12:13], v[153:154]
	s_cbranch_execz .LBB0_15
; %bb.1:
	s_clause 0x1
	s_load_b128 s[4:7], s[0:1], 0x18
	s_load_b64 s[12:13], s[0:1], 0x0
	v_mul_lo_u16 v1, v1, 17
	s_delay_alu instid0(VALU_DEP_1) | instskip(NEXT) | instid1(VALU_DEP_1)
	v_sub_nc_u16 v40, v0, v1
	v_and_b32_e32 v150, 0xffff, v40
	s_wait_kmcnt 0x0
	s_load_b128 s[8:11], s[4:5], 0x0
	s_wait_kmcnt 0x0
	v_mad_co_u64_u32 v[0:1], null, s10, v153, 0
	v_mad_co_u64_u32 v[2:3], null, s8, v150, 0
	s_mul_u64 s[2:3], s[8:9], 25
	s_delay_alu instid0(VALU_DEP_1) | instskip(SKIP_1) | instid1(VALU_DEP_1)
	v_mad_co_u64_u32 v[4:5], null, s11, v153, v[1:2]
	s_load_b64 s[10:11], s[0:1], 0x38
	v_mov_b32_e32 v1, v4
	s_delay_alu instid0(VALU_DEP_3) | instskip(SKIP_2) | instid1(VALU_DEP_4)
	v_mad_co_u64_u32 v[5:6], null, s9, v150, v[3:4]
	v_lshlrev_b32_e32 v106, 3, v150
	v_or_b32_e32 v138, 0xc0, v150
	v_lshlrev_b64_e32 v[0:1], 3, v[0:1]
	v_or_b32_e32 v139, 0x188, v150
	v_mov_b32_e32 v3, v5
	s_clause 0xe
	global_load_b64 v[179:180], v106, s[12:13]
	global_load_b64 v[252:253], v106, s[12:13] offset:200
	global_load_b64 v[166:167], v106, s[12:13] offset:400
	;; [unrolled: 1-line block ×14, first 2 shown]
	v_lshlrev_b64_e32 v[4:5], 3, v[2:3]
	v_add_co_u32 v2, vcc_lo, s14, v0
	v_add_co_ci_u32_e32 v3, vcc_lo, s15, v1, vcc_lo
	s_lshl_b64 s[14:15], s[2:3], 3
	s_delay_alu instid0(VALU_DEP_2) | instskip(SKIP_1) | instid1(VALU_DEP_2)
	v_add_co_u32 v0, vcc_lo, v2, v4
	s_wait_alu 0xfffd
	v_add_co_ci_u32_e32 v1, vcc_lo, v3, v5, vcc_lo
	v_add_co_u32 v136, s2, s12, v106
	s_wait_alu 0xfffe
	v_add_co_u32 v4, vcc_lo, v0, s14
	s_wait_alu 0xfffd
	v_add_co_ci_u32_e32 v5, vcc_lo, s15, v1, vcc_lo
	global_load_b64 v[10:11], v[0:1], off
	v_add_co_u32 v6, vcc_lo, v4, s14
	s_wait_alu 0xfffd
	v_add_co_ci_u32_e32 v7, vcc_lo, s15, v5, vcc_lo
	v_add_co_ci_u32_e64 v137, null, s13, 0, s2
	s_delay_alu instid0(VALU_DEP_3) | instskip(SKIP_1) | instid1(VALU_DEP_3)
	v_add_co_u32 v8, vcc_lo, v6, s14
	s_wait_alu 0xfffd
	v_add_co_ci_u32_e32 v9, vcc_lo, s15, v7, vcc_lo
	s_clause 0x2
	global_load_b64 v[4:5], v[4:5], off
	global_load_b64 v[6:7], v[6:7], off
	;; [unrolled: 1-line block ×3, first 2 shown]
	v_add_co_u32 v0, vcc_lo, v8, s14
	s_wait_alu 0xfffd
	v_add_co_ci_u32_e32 v1, vcc_lo, s15, v9, vcc_lo
	s_delay_alu instid0(VALU_DEP_2) | instskip(SKIP_1) | instid1(VALU_DEP_2)
	v_add_co_u32 v8, vcc_lo, v0, s14
	s_wait_alu 0xfffd
	v_add_co_ci_u32_e32 v9, vcc_lo, s15, v1, vcc_lo
	global_load_b64 v[14:15], v[0:1], off
	v_add_co_u32 v0, vcc_lo, v8, s14
	s_wait_alu 0xfffd
	v_add_co_ci_u32_e32 v1, vcc_lo, s15, v9, vcc_lo
	global_load_b64 v[16:17], v[8:9], off
	;; [unrolled: 4-line block ×11, first 2 shown]
	v_add_co_u32 v0, vcc_lo, v8, s14
	s_wait_alu 0xfffd
	v_add_co_ci_u32_e32 v1, vcc_lo, s15, v9, vcc_lo
	global_load_b64 v[160:161], v106, s[12:13] offset:3000
	global_load_b64 v[36:37], v[8:9], off
	global_load_b64 v[158:159], v106, s[12:13] offset:3200
	global_load_b64 v[38:39], v[0:1], off
	v_mul_hi_u32 v8, 0xaaaaaaab, v153
	v_cmp_gt_u16_e32 vcc_lo, 8, v40
	s_load_b128 s[4:7], s[6:7], 0x0
	s_delay_alu instid0(VALU_DEP_2) | instskip(NEXT) | instid1(VALU_DEP_1)
	v_lshrrev_b32_e32 v8, 1, v8
	v_lshl_add_u32 v8, v8, 1, v8
	s_delay_alu instid0(VALU_DEP_1) | instskip(NEXT) | instid1(VALU_DEP_1)
	v_sub_nc_u32_e32 v8, v153, v8
	v_mul_u32_u24_e32 v8, 0x1a9, v8
	s_delay_alu instid0(VALU_DEP_1)
	v_lshlrev_b32_e32 v172, 3, v8
	s_wait_loadcnt 0x12
	v_mul_f32_e32 v40, v11, v180
	s_wait_loadcnt 0x11
	v_dual_mul_f32 v9, v10, v180 :: v_dual_mul_f32 v42, v5, v253
	v_dual_mul_f32 v43, v4, v253 :: v_dual_add_nc_u32 v178, v106, v172
	s_delay_alu instid0(VALU_DEP_2) | instskip(NEXT) | instid1(VALU_DEP_3)
	v_fma_f32 v41, v11, v179, -v9
	v_fmac_f32_e32 v42, v4, v252
	s_delay_alu instid0(VALU_DEP_3) | instskip(SKIP_3) | instid1(VALU_DEP_2)
	v_fma_f32 v43, v5, v252, -v43
	s_wait_loadcnt 0x10
	v_mul_f32_e32 v5, v6, v167
	v_mul_f32_e32 v4, v7, v167
	v_fma_f32 v5, v7, v166, -v5
	s_wait_loadcnt 0xf
	v_mul_f32_e32 v7, v12, v171
	v_dual_fmac_f32 v40, v10, v179 :: v_dual_add_nc_u32 v9, 0x800, v178
	v_mul_f32_e32 v10, v13, v171
	v_add_nc_u32_e32 v8, 0x400, v178
	v_fmac_f32_e32 v4, v6, v166
	ds_store_2addr_b64 v178, v[40:41], v[42:43] offset1:25
	s_wait_loadcnt 0xe
	v_mul_f32_e32 v6, v15, v165
	v_fmac_f32_e32 v10, v12, v170
	v_mul_f32_e32 v40, v14, v165
	s_wait_loadcnt 0xd
	v_mul_f32_e32 v12, v17, v169
	v_mul_f32_e32 v41, v16, v169
	v_fma_f32 v11, v13, v170, -v7
	v_fmac_f32_e32 v6, v14, v164
	v_fma_f32 v7, v15, v164, -v40
	v_fmac_f32_e32 v12, v16, v168
	v_fma_f32 v13, v17, v168, -v41
	s_wait_loadcnt 0xc
	v_mul_f32_e32 v14, v19, v155
	v_mul_f32_e32 v15, v18, v155
	ds_store_2addr_b64 v178, v[6:7], v[12:13] offset0:100 offset1:125
	s_wait_loadcnt 0xa
	v_mul_f32_e32 v6, v23, v163
	v_mul_f32_e32 v7, v22, v163
	ds_store_2addr_b64 v178, v[4:5], v[10:11] offset0:50 offset1:75
	s_wait_loadcnt 0x9
	v_mul_f32_e32 v10, v25, v147
	v_dual_mul_f32 v11, v24, v147 :: v_dual_mul_f32 v4, v21, v157
	v_dual_mul_f32 v5, v20, v157 :: v_dual_fmac_f32 v6, v22, v162
	v_fma_f32 v7, v23, v162, -v7
	s_delay_alu instid0(VALU_DEP_4) | instskip(NEXT) | instid1(VALU_DEP_4)
	v_fmac_f32_e32 v10, v24, v146
	v_fma_f32 v11, v25, v146, -v11
	v_fma_f32 v15, v19, v154, -v15
	;; [unrolled: 1-line block ×3, first 2 shown]
	s_wait_loadcnt 0x7
	v_mul_f32_e32 v12, v29, v152
	ds_store_2addr_b64 v178, v[6:7], v[10:11] offset0:200 offset1:225
	s_wait_loadcnt 0x6
	v_dual_mul_f32 v7, v28, v152 :: v_dual_mul_f32 v6, v31, v141
	v_fmac_f32_e32 v12, v28, v151
	s_delay_alu instid0(VALU_DEP_2) | instskip(SKIP_4) | instid1(VALU_DEP_3)
	v_fma_f32 v13, v29, v151, -v7
	v_mul_f32_e32 v7, v30, v141
	s_wait_loadcnt 0x5
	v_mul_f32_e32 v10, v33, v145
	v_dual_mul_f32 v11, v32, v145 :: v_dual_fmac_f32 v6, v30, v140
	v_fma_f32 v7, v31, v140, -v7
	s_delay_alu instid0(VALU_DEP_3) | instskip(NEXT) | instid1(VALU_DEP_3)
	v_fmac_f32_e32 v10, v32, v144
	v_fma_f32 v11, v33, v144, -v11
	s_wait_loadcnt 0x2
	v_dual_mul_f32 v17, v36, v161 :: v_dual_fmac_f32 v14, v18, v154
	s_wait_loadcnt 0x0
	v_dual_mul_f32 v19, v38, v159 :: v_dual_fmac_f32 v4, v20, v156
	v_mul_f32_e32 v16, v37, v161
	v_mul_f32_e32 v18, v39, v159
	v_fma_f32 v17, v37, v160, -v17
	s_delay_alu instid0(VALU_DEP_4) | instskip(SKIP_4) | instid1(VALU_DEP_3)
	v_fma_f32 v19, v39, v158, -v19
	ds_store_2addr_b64 v178, v[14:15], v[4:5] offset0:150 offset1:175
	v_mul_f32_e32 v4, v27, v149
	v_dual_mul_f32 v5, v26, v149 :: v_dual_mul_f32 v14, v35, v143
	v_dual_mul_f32 v15, v34, v143 :: v_dual_fmac_f32 v16, v36, v160
	v_fmac_f32_e32 v4, v26, v148
	s_delay_alu instid0(VALU_DEP_3) | instskip(NEXT) | instid1(VALU_DEP_4)
	v_fma_f32 v5, v27, v148, -v5
	v_fmac_f32_e32 v14, v34, v142
	s_delay_alu instid0(VALU_DEP_4)
	v_fma_f32 v15, v35, v142, -v15
	v_fmac_f32_e32 v18, v38, v158
	ds_store_2addr_b64 v8, v[4:5], v[12:13] offset0:122 offset1:147
	ds_store_2addr_b64 v9, v[6:7], v[10:11] offset0:44 offset1:69
	ds_store_2addr_b64 v9, v[14:15], v[16:17] offset0:94 offset1:119
	ds_store_b64 v178, v[18:19] offset:3200
	s_and_saveexec_b32 s3, vcc_lo
	s_cbranch_execz .LBB0_3
; %bb.2:
	v_mad_co_u64_u32 v[0:1], null, 0xfffff408, s8, v[0:1]
	s_mul_i32 s2, s9, 0xfffff408
	v_mad_co_u64_u32 v[4:5], null, s8, v138, 0
	s_wait_alu 0xfffe
	s_sub_co_i32 s2, s2, s8
	v_mad_co_u64_u32 v[17:18], null, s8, v139, 0
	s_wait_alu 0xfffe
	s_delay_alu instid0(VALU_DEP_3) | instskip(SKIP_1) | instid1(VALU_DEP_1)
	v_add_nc_u32_e32 v1, s2, v1
	v_add_co_u32 v6, s2, v0, s14
	v_mad_co_u64_u32 v[14:15], null, s9, v138, v[5:6]
	s_delay_alu instid0(VALU_DEP_1)
	v_dual_mov_b32 v5, v14 :: v_dual_mov_b32 v14, v18
	s_wait_alu 0xf1ff
	v_add_co_ci_u32_e64 v7, s2, s15, v1, s2
	v_add_co_u32 v10, s2, v6, s14
	global_load_b64 v[0:1], v[0:1], off
	s_wait_alu 0xf1ff
	v_add_co_ci_u32_e64 v11, s2, s15, v7, s2
	v_add_co_u32 v12, s2, v10, s14
	s_wait_alu 0xf1ff
	s_delay_alu instid0(VALU_DEP_2)
	v_add_co_ci_u32_e64 v13, s2, s15, v11, s2
	global_load_b64 v[6:7], v[6:7], off
	global_load_b64 v[10:11], v[10:11], off
	;; [unrolled: 1-line block ×3, first 2 shown]
	s_clause 0x3
	global_load_b64 v[21:22], v[136:137], off offset:136
	global_load_b64 v[23:24], v[136:137], off offset:336
	global_load_b64 v[25:26], v[136:137], off offset:536
	global_load_b64 v[27:28], v[136:137], off offset:736
	v_add_co_u32 v12, s2, v12, s14
	s_wait_alu 0xf1ff
	v_add_co_ci_u32_e64 v13, s2, s15, v13, s2
	s_delay_alu instid0(VALU_DEP_2) | instskip(SKIP_1) | instid1(VALU_DEP_2)
	v_add_co_u32 v19, s2, v12, s14
	s_wait_alu 0xf1ff
	v_add_co_ci_u32_e64 v20, s2, s15, v13, s2
	global_load_b64 v[12:13], v[12:13], off
	global_load_b64 v[29:30], v[19:20], off
	v_add_co_u32 v19, s2, v19, s14
	s_wait_alu 0xf1ff
	v_add_co_ci_u32_e64 v20, s2, s15, v20, s2
	s_wait_loadcnt 0x5
	v_mul_f32_e32 v72, v1, v22
	v_mad_co_u64_u32 v[31:32], null, s9, v139, v[14:15]
	global_load_b64 v[32:33], v[19:20], off
	v_mad_co_u64_u32 v[19:20], null, 0x190, s8, v[19:20]
	s_mulk_i32 s9, 0x190
	v_mul_f32_e32 v14, v0, v22
	s_wait_loadcnt 0x5
	v_mul_f32_e32 v22, v7, v24
	v_mov_b32_e32 v18, v31
	v_lshlrev_b64_e32 v[4:5], 3, v[4:5]
	s_wait_alu 0xfffe
	v_add_nc_u32_e32 v20, s9, v20
	v_fma_f32 v73, v1, v21, -v14
	s_wait_loadcnt 0x4
	v_mul_f32_e32 v1, v10, v26
	v_lshlrev_b64_e32 v[17:18], 3, v[17:18]
	v_add_co_u32 v4, s2, v2, v4
	s_wait_alu 0xf1ff
	v_add_co_ci_u32_e64 v5, s2, v3, v5, s2
	v_fma_f32 v1, v11, v25, -v1
	s_delay_alu instid0(VALU_DEP_4)
	v_add_co_u32 v2, s2, v2, v17
	s_wait_alu 0xf1ff
	v_add_co_ci_u32_e64 v3, s2, v3, v18, s2
	v_add_co_u32 v17, s2, v19, s14
	s_wait_alu 0xf1ff
	v_add_co_ci_u32_e64 v18, s2, s15, v20, s2
	global_load_b64 v[4:5], v[4:5], off
	v_add_co_u32 v44, s2, v17, s14
	s_wait_alu 0xf1ff
	v_add_co_ci_u32_e64 v45, s2, s15, v18, s2
	s_clause 0x3
	global_load_b64 v[34:35], v[136:137], off offset:936
	global_load_b64 v[36:37], v[136:137], off offset:1136
	global_load_b64 v[38:39], v[136:137], off offset:1336
	global_load_b64 v[40:41], v[136:137], off offset:1536
	v_add_co_u32 v48, s2, v44, s14
	s_wait_alu 0xf1ff
	v_add_co_ci_u32_e64 v49, s2, s15, v45, s2
	global_load_b64 v[2:3], v[2:3], off
	global_load_b64 v[42:43], v[136:137], off offset:3136
	global_load_b64 v[19:20], v[19:20], off
	v_add_co_u32 v50, s2, v48, s14
	s_wait_alu 0xf1ff
	v_add_co_ci_u32_e64 v51, s2, s15, v49, s2
	global_load_b64 v[46:47], v[136:137], off offset:1736
	v_add_co_u32 v52, s2, v50, s14
	s_wait_alu 0xf1ff
	v_add_co_ci_u32_e64 v53, s2, s15, v51, s2
	global_load_b64 v[17:18], v[17:18], off
	v_add_co_u32 v58, s2, v52, s14
	global_load_b64 v[44:45], v[44:45], off
	s_clause 0x1
	global_load_b64 v[54:55], v[136:137], off offset:1936
	global_load_b64 v[56:57], v[136:137], off offset:2136
	s_wait_alu 0xf1ff
	v_add_co_ci_u32_e64 v59, s2, s15, v53, s2
	global_load_b64 v[48:49], v[48:49], off
	global_load_b64 v[60:61], v[136:137], off offset:2336
	global_load_b64 v[50:51], v[50:51], off
	global_load_b64 v[64:65], v[136:137], off offset:2536
	;; [unrolled: 2-line block ×3, first 2 shown]
	v_mul_f32_e32 v24, v6, v24
	v_mad_co_u64_u32 v[62:63], null, 0x190, s8, v[58:59]
	v_fmac_f32_e32 v22, v6, v23
	s_wait_loadcnt 0x16
	v_mul_f32_e32 v6, v16, v28
	v_fma_f32 v23, v7, v23, -v24
	v_dual_mul_f32 v7, v15, v28 :: v_dual_fmac_f32 v72, v0, v21
	v_dual_mul_f32 v0, v11, v26 :: v_dual_add_nc_u32 v63, s9, v63
	global_load_b64 v[68:69], v[136:137], off offset:2936
	global_load_b64 v[58:59], v[58:59], off
	global_load_b64 v[70:71], v[136:137], off offset:3336
	global_load_b64 v[62:63], v[62:63], off
	v_fmac_f32_e32 v6, v15, v27
	v_fmac_f32_e32 v0, v10, v25
	v_fma_f32 v7, v16, v27, -v7
	ds_store_2addr_b64 v178, v[0:1], v[6:7] offset0:67 offset1:92
	s_wait_loadcnt 0x15
	v_mul_f32_e32 v11, v12, v35
	v_mul_f32_e32 v10, v13, v35
	s_wait_loadcnt 0x14
	v_mul_f32_e32 v0, v30, v37
	s_wait_loadcnt 0x12
	v_mul_f32_e32 v14, v5, v41
	v_mul_f32_e32 v1, v29, v37
	;; [unrolled: 1-line block ×3, first 2 shown]
	v_fma_f32 v11, v13, v34, -v11
	v_mul_f32_e32 v6, v32, v39
	s_wait_loadcnt 0x10
	v_dual_mul_f32 v21, v3, v43 :: v_dual_fmac_f32 v10, v12, v34
	v_fmac_f32_e32 v0, v29, v36
	v_fma_f32 v1, v30, v36, -v1
	v_fma_f32 v15, v5, v40, -v15
	;; [unrolled: 1-line block ×3, first 2 shown]
	v_mul_f32_e32 v16, v2, v43
	v_fmac_f32_e32 v21, v2, v42
	ds_store_2addr_b64 v178, v[72:73], v[22:23] offset0:17 offset1:42
	s_wait_loadcnt 0xe
	v_mul_f32_e32 v2, v20, v47
	v_fma_f32 v22, v3, v42, -v16
	s_wait_loadcnt 0xa
	s_delay_alu instid0(VALU_DEP_2)
	v_dual_mul_f32 v7, v44, v57 :: v_dual_fmac_f32 v2, v19, v46
	s_wait_loadcnt 0x4
	v_dual_mul_f32 v6, v49, v61 :: v_dual_mul_f32 v13, v52, v67
	v_fmac_f32_e32 v14, v4, v40
	v_mul_f32_e32 v4, v33, v39
	v_mul_f32_e32 v12, v53, v67
	s_delay_alu instid0(VALU_DEP_4) | instskip(SKIP_1) | instid1(VALU_DEP_4)
	v_fmac_f32_e32 v6, v48, v60
	v_fma_f32 v13, v53, v66, -v13
	v_fmac_f32_e32 v4, v32, v38
	ds_store_2addr_b64 v178, v[10:11], v[0:1] offset0:117 offset1:142
	ds_store_2addr_b64 v178, v[4:5], v[14:15] offset0:167 offset1:192
	s_wait_loadcnt 0x2
	v_mul_f32_e32 v15, v58, v69
	v_mul_f32_e32 v1, v19, v47
	;; [unrolled: 1-line block ×6, first 2 shown]
	v_fma_f32 v3, v20, v46, -v1
	v_fma_f32 v1, v18, v54, -v5
	;; [unrolled: 1-line block ×3, first 2 shown]
	v_mul_f32_e32 v7, v48, v61
	v_mul_f32_e32 v11, v50, v65
	v_mul_f32_e32 v14, v59, v69
	v_fmac_f32_e32 v0, v17, v54
	s_wait_loadcnt 0x0
	v_mul_f32_e32 v16, v63, v71
	v_dual_mul_f32 v17, v62, v71 :: v_dual_fmac_f32 v4, v44, v56
	v_fma_f32 v7, v49, v60, -v7
	v_fmac_f32_e32 v10, v50, v64
	v_fma_f32 v11, v51, v64, -v11
	v_fmac_f32_e32 v12, v52, v66
	v_fmac_f32_e32 v14, v58, v68
	v_fma_f32 v15, v59, v68, -v15
	v_fmac_f32_e32 v16, v62, v70
	v_fma_f32 v17, v63, v70, -v17
	ds_store_2addr_b64 v178, v[2:3], v[0:1] offset0:217 offset1:242
	ds_store_2addr_b64 v9, v[4:5], v[6:7] offset0:11 offset1:36
	;; [unrolled: 1-line block ×4, first 2 shown]
	ds_store_b64 v178, v[16:17] offset:3336
.LBB0_3:
	s_wait_alu 0xfffe
	s_or_b32 exec_lo, exec_lo, s3
	global_wb scope:SCOPE_SE
	s_wait_dscnt 0x0
	s_wait_kmcnt 0x0
	s_barrier_signal -1
	s_barrier_wait -1
	global_inv scope:SCOPE_SE
	ds_load_2addr_b64 v[4:7], v178 offset1:25
	ds_load_2addr_b64 v[20:23], v178 offset0:50 offset1:75
	ds_load_2addr_b64 v[48:51], v178 offset0:100 offset1:125
	;; [unrolled: 1-line block ×7, first 2 shown]
	ds_load_b64 v[66:67], v178 offset:3200
	s_load_b64 s[0:1], s[0:1], 0x8
	v_mov_b32_e32 v8, 0
	v_mov_b32_e32 v9, 0
                                        ; implicit-def: $vgpr30
                                        ; implicit-def: $vgpr12
                                        ; implicit-def: $vgpr16
                                        ; implicit-def: $vgpr24
                                        ; implicit-def: $vgpr64
                                        ; implicit-def: $vgpr34
                                        ; implicit-def: $vgpr38
                                        ; implicit-def: $vgpr42
	s_and_saveexec_b32 s2, vcc_lo
	s_cbranch_execz .LBB0_5
; %bb.4:
	v_add_nc_u32_e32 v24, 0x800, v178
	ds_load_2addr_b64 v[8:11], v178 offset0:17 offset1:42
	ds_load_2addr_b64 v[40:43], v178 offset0:67 offset1:92
	;; [unrolled: 1-line block ×8, first 2 shown]
	ds_load_b64 v[64:65], v178 offset:3336
.LBB0_5:
	s_wait_alu 0xfffe
	s_or_b32 exec_lo, exec_lo, s2
	s_wait_dscnt 0x8
	v_dual_add_f32 v68, v4, v6 :: v_dual_add_f32 v69, v5, v7
	s_wait_dscnt 0x3
	v_dual_sub_f32 v70, v60, v58 :: v_dual_sub_f32 v71, v63, v57
	v_sub_f32_e32 v72, v62, v56
	s_delay_alu instid0(VALU_DEP_3)
	v_dual_add_f32 v68, v68, v20 :: v_dual_add_f32 v69, v69, v21
	s_wait_dscnt 0x1
	v_dual_sub_f32 v88, v20, v46 :: v_dual_sub_f32 v89, v23, v45
	global_wb scope:SCOPE_SE
	s_wait_dscnt 0x0
	v_dual_add_f32 v68, v68, v22 :: v_dual_add_f32 v69, v69, v23
	s_wait_kmcnt 0x0
	s_barrier_signal -1
	s_barrier_wait -1
	global_inv scope:SCOPE_SE
	v_dual_add_f32 v68, v68, v48 :: v_dual_add_f32 v69, v69, v49
	v_mul_f32_e32 v185, 0xbf06c442, v70
	v_dual_sub_f32 v231, v36, v18 :: v_dual_sub_f32 v232, v39, v17
	s_delay_alu instid0(VALU_DEP_3) | instskip(SKIP_1) | instid1(VALU_DEP_2)
	v_dual_add_f32 v68, v68, v50 :: v_dual_add_f32 v69, v69, v51
	v_dual_sub_f32 v235, v32, v14 :: v_dual_sub_f32 v90, v21, v47
	v_dual_add_f32 v21, v47, v21 :: v_dual_add_f32 v68, v68, v60
	s_delay_alu instid0(VALU_DEP_3) | instskip(NEXT) | instid1(VALU_DEP_3)
	v_dual_add_f32 v69, v69, v61 :: v_dual_mul_f32 v186, 0x3f4c4adb, v71
	v_mul_f32_e32 v190, 0x3f06c442, v90
	s_delay_alu instid0(VALU_DEP_3) | instskip(NEXT) | instid1(VALU_DEP_3)
	v_dual_sub_f32 v236, v35, v13 :: v_dual_add_f32 v73, v68, v62
	v_add_f32_e32 v74, v69, v63
	v_dual_sub_f32 v69, v61, v59 :: v_dual_add_f32 v68, v58, v60
	v_dual_add_f32 v60, v59, v61 :: v_dual_add_f32 v61, v56, v62
	v_add_f32_e32 v62, v57, v63
	v_add_f32_e32 v63, v73, v0
	;; [unrolled: 1-line block ×3, first 2 shown]
	v_dual_mul_f32 v183, 0xbf06c442, v69 :: v_dual_sub_f32 v234, v33, v15
	v_sub_f32_e32 v233, v38, v16
	s_delay_alu instid0(VALU_DEP_4) | instskip(NEXT) | instid1(VALU_DEP_4)
	v_add_f32_e32 v63, v63, v2
	v_add_f32_e32 v73, v73, v3
	v_mul_f32_e32 v187, 0x3f4c4adb, v72
	v_sub_f32_e32 v237, v34, v12
	s_delay_alu instid0(VALU_DEP_3) | instskip(SKIP_2) | instid1(VALU_DEP_3)
	v_dual_add_f32 v56, v63, v56 :: v_dual_add_f32 v57, v73, v57
	v_sub_f32_e32 v73, v49, v55
	v_sub_f32_e32 v63, v48, v54
	v_add_f32_e32 v74, v56, v58
	s_delay_alu instid0(VALU_DEP_4) | instskip(SKIP_3) | instid1(VALU_DEP_4)
	v_dual_add_f32 v56, v54, v48 :: v_dual_add_f32 v57, v57, v59
	v_add_f32_e32 v48, v55, v49
	v_dual_sub_f32 v59, v51, v53 :: v_dual_sub_f32 v58, v50, v52
	v_dual_add_f32 v49, v52, v50 :: v_dual_add_f32 v50, v53, v51
	v_dual_add_f32 v51, v74, v52 :: v_dual_add_f32 v52, v57, v53
	s_delay_alu instid0(VALU_DEP_1) | instskip(SKIP_2) | instid1(VALU_DEP_3)
	v_dual_add_f32 v53, v51, v54 :: v_dual_add_f32 v52, v52, v55
	v_dual_add_f32 v51, v46, v20 :: v_dual_add_f32 v20, v44, v22
	v_dual_sub_f32 v87, v22, v44 :: v_dual_add_f32 v22, v45, v23
	v_dual_add_f32 v23, v53, v44 :: v_dual_add_f32 v44, v52, v45
	s_delay_alu instid0(VALU_DEP_1) | instskip(SKIP_1) | instid1(VALU_DEP_3)
	v_dual_add_f32 v75, v44, v47 :: v_dual_add_f32 v44, v66, v6
	v_sub_f32_e32 v6, v6, v66
	v_add_f32_e32 v74, v23, v46
	v_sub_f32_e32 v23, v7, v67
	s_delay_alu instid0(VALU_DEP_3) | instskip(SKIP_1) | instid1(VALU_DEP_3)
	v_dual_add_f32 v7, v67, v7 :: v_dual_mul_f32 v94, 0xbf763a35, v6
	v_mul_f32_e32 v97, 0xbf06c442, v6
	v_mul_f32_e32 v78, 0xbf4c4adb, v23
	;; [unrolled: 1-line block ×5, first 2 shown]
	v_fma_f32 v101, 0xbf59a7d5, v7, -v97
	v_fma_f32 v79, 0xbf1a4643, v44, -v78
	v_fmac_f32_e32 v78, 0xbf1a4643, v44
	v_mul_f32_e32 v45, 0xbeb8f4ab, v23
	v_mul_f32_e32 v80, 0xbf06c442, v23
	;; [unrolled: 1-line block ×5, first 2 shown]
	v_fma_f32 v46, 0x3f6eb680, v44, -v45
	v_mul_f32_e32 v76, 0xbf763a35, v23
	v_fma_f32 v83, 0xbf59a7d5, v44, -v80
	v_fmac_f32_e32 v80, 0xbf59a7d5, v44
	v_fma_f32 v52, 0x3f3d2fb0, v44, -v47
	v_fma_f32 v54, 0x3ee437d1, v44, -v53
	v_mul_f32_e32 v81, 0xbe3c28d5, v23
	v_mul_f32_e32 v23, 0xbeb8f4ab, v6
	v_add_f32_e32 v113, v4, v46
	v_fma_f32 v77, 0xbe8c1d8e, v44, -v76
	v_fmac_f32_e32 v76, 0xbe8c1d8e, v44
	v_fmamk_f32 v95, v7, 0xbe8c1d8e, v94
	v_fmac_f32_e32 v47, 0x3f3d2fb0, v44
	v_fmac_f32_e32 v45, 0x3f6eb680, v44
	v_dual_fmac_f32 v53, 0x3ee437d1, v44 :: v_dual_add_f32 v108, v4, v54
	v_fma_f32 v57, 0x3dbcf732, v44, -v55
	v_fmac_f32_e32 v55, 0x3dbcf732, v44
	v_dual_fmamk_f32 v85, v7, 0x3f3d2fb0, v82 :: v_dual_add_f32 v110, v4, v52
	s_delay_alu instid0(VALU_DEP_3)
	v_dual_mul_f32 v96, 0xbf4c4adb, v6 :: v_dual_add_f32 v105, v4, v57
	v_mul_f32_e32 v6, 0xbe3c28d5, v6
	v_fma_f32 v84, 0xbf7ba420, v44, -v81
	v_dual_add_f32 v52, v4, v76 :: v_dual_fmamk_f32 v93, v7, 0x3dbcf732, v92
	v_dual_add_f32 v102, v5, v95 :: v_dual_fmac_f32 v81, 0xbf7ba420, v44
	v_fmamk_f32 v44, v7, 0x3f6eb680, v23
	v_fma_f32 v82, 0x3f3d2fb0, v7, -v82
	v_fma_f32 v92, 0x3dbcf732, v7, -v92
	v_fmamk_f32 v98, v7, 0xbf1a4643, v96
	v_fma_f32 v96, 0xbf1a4643, v7, -v96
	v_add_f32_e32 v114, v5, v44
	v_dual_add_f32 v44, v4, v53 :: v_dual_fmamk_f32 v91, v7, 0x3ee437d1, v86
	v_add_f32_e32 v54, v4, v55
	v_fma_f32 v23, 0x3f6eb680, v7, -v23
	v_fma_f32 v86, 0x3ee437d1, v7, -v86
	v_fmamk_f32 v100, v7, 0xbf59a7d5, v97
	v_fmamk_f32 v111, v7, 0xbf7ba420, v6
	v_fma_f32 v112, 0xbf7ba420, v7, -v6
	v_add_f32_e32 v107, v5, v91
	v_fma_f32 v94, 0xbe8c1d8e, v7, -v94
	v_add_f32_e32 v7, v5, v23
	v_dual_add_f32 v109, v5, v85 :: v_dual_add_f32 v46, v4, v47
	v_dual_add_f32 v6, v4, v45 :: v_dual_add_f32 v45, v5, v82
	v_add_f32_e32 v98, v5, v98
	v_add_f32_e32 v23, v5, v86
	;; [unrolled: 1-line block ×3, first 2 shown]
	v_dual_add_f32 v53, v5, v92 :: v_dual_add_f32 v82, v4, v78
	v_add_f32_e32 v103, v4, v77
	v_add_f32_e32 v47, v5, v94
	v_dual_add_f32 v99, v4, v79 :: v_dual_add_f32 v92, v5, v112
	v_add_f32_e32 v79, v5, v96
	v_add_f32_e32 v96, v5, v100
	;; [unrolled: 3-line block ×3, first 2 shown]
	v_mul_f32_e32 v67, 0xbf65296c, v89
	v_add_f32_e32 v97, v4, v83
	v_dual_add_f32 v95, v4, v84 :: v_dual_sub_f32 v100, v1, v3
	v_dual_sub_f32 v101, v0, v2 :: v_dual_mul_f32 v80, 0xbf7ee86f, v63
	s_delay_alu instid0(VALU_DEP_4)
	v_fma_f32 v75, 0x3ee437d1, v20, -v67
	v_dual_add_f32 v93, v4, v81 :: v_dual_add_f32 v4, v74, v66
	v_mul_f32_e32 v66, 0xbf2c7751, v90
	v_add_f32_e32 v2, v2, v0
	v_mul_f32_e32 v74, 0xbf2c7751, v88
	v_mul_f32_e32 v77, 0xbf65296c, v87
	;; [unrolled: 1-line block ×3, first 2 shown]
	v_fma_f32 v0, 0x3f3d2fb0, v51, -v66
	v_mul_f32_e32 v83, 0xbf763a35, v58
	v_mul_f32_e32 v81, 0xbf4c4adb, v69
	;; [unrolled: 1-line block ×4, first 2 shown]
	v_add_f32_e32 v0, v0, v113
	v_mul_f32_e32 v86, 0xbf06c442, v72
	v_dual_mul_f32 v124, 0x3eb8f4ab, v100 :: v_dual_mul_f32 v125, 0x3eb8f4ab, v101
	v_mul_f32_e32 v176, 0xbf06c442, v101
	s_delay_alu instid0(VALU_DEP_4)
	v_add_f32_e32 v0, v75, v0
	v_add_f32_e32 v3, v3, v1
	v_fmamk_f32 v1, v21, 0x3f3d2fb0, v74
	v_fmamk_f32 v75, v22, 0x3ee437d1, v77
	v_mul_f32_e32 v175, 0xbf06c442, v100
	v_dual_mul_f32 v188, 0x3f2c7751, v100 :: v_dual_mul_f32 v189, 0x3f2c7751, v101
	s_delay_alu instid0(VALU_DEP_4) | instskip(SKIP_2) | instid1(VALU_DEP_3)
	v_add_f32_e32 v1, v1, v114
	v_dual_mul_f32 v215, 0x3f65296c, v100 :: v_dual_mul_f32 v216, 0x3f65296c, v101
	v_mul_f32_e32 v230, 0xbf763a35, v101
	v_add_f32_e32 v1, v75, v1
	v_mul_f32_e32 v75, 0xbf7ee86f, v73
	s_delay_alu instid0(VALU_DEP_1) | instskip(NEXT) | instid1(VALU_DEP_1)
	v_fma_f32 v76, 0x3dbcf732, v56, -v75
	v_add_f32_e32 v0, v76, v0
	v_fmamk_f32 v76, v48, 0x3dbcf732, v80
	s_delay_alu instid0(VALU_DEP_1) | instskip(SKIP_2) | instid1(VALU_DEP_2)
	v_add_f32_e32 v1, v76, v1
	v_fma_f32 v76, 0xbe8c1d8e, v49, -v78
	v_fmac_f32_e32 v78, 0xbe8c1d8e, v49
	v_add_f32_e32 v0, v76, v0
	v_fmamk_f32 v76, v50, 0xbe8c1d8e, v83
	s_delay_alu instid0(VALU_DEP_1) | instskip(SKIP_1) | instid1(VALU_DEP_1)
	v_add_f32_e32 v1, v76, v1
	v_fma_f32 v76, 0xbf1a4643, v68, -v81
	v_add_f32_e32 v0, v76, v0
	v_fmamk_f32 v76, v60, 0xbf1a4643, v85
	s_delay_alu instid0(VALU_DEP_1) | instskip(SKIP_2) | instid1(VALU_DEP_2)
	v_add_f32_e32 v1, v76, v1
	v_fma_f32 v76, 0xbf59a7d5, v61, -v84
	v_fmac_f32_e32 v84, 0xbf59a7d5, v61
	v_add_f32_e32 v0, v76, v0
	v_fmamk_f32 v76, v62, 0xbf59a7d5, v86
	s_delay_alu instid0(VALU_DEP_1) | instskip(NEXT) | instid1(VALU_DEP_1)
	v_dual_add_f32 v1, v76, v1 :: v_dual_mul_f32 v76, 0xbe3c28d5, v100
	v_fma_f32 v91, 0xbf7ba420, v2, -v76
	v_fmac_f32_e32 v76, 0xbf7ba420, v2
	v_fmac_f32_e32 v67, 0x3ee437d1, v20
	;; [unrolled: 1-line block ×3, first 2 shown]
	s_delay_alu instid0(VALU_DEP_4) | instskip(NEXT) | instid1(VALU_DEP_1)
	v_dual_add_f32 v0, v91, v0 :: v_dual_mul_f32 v91, 0xbe3c28d5, v101
	v_fmamk_f32 v111, v3, 0xbf7ba420, v91
	s_delay_alu instid0(VALU_DEP_1) | instskip(SKIP_1) | instid1(VALU_DEP_1)
	v_add_f32_e32 v1, v111, v1
	v_mul_f32_e32 v111, 0xbf7ee86f, v90
	v_fma_f32 v112, 0x3dbcf732, v51, -v111
	s_delay_alu instid0(VALU_DEP_1) | instskip(SKIP_2) | instid1(VALU_DEP_2)
	v_add_f32_e32 v110, v112, v110
	v_mul_f32_e32 v112, 0xbf7ee86f, v88
	v_fmac_f32_e32 v75, 0x3dbcf732, v56
	v_fmamk_f32 v113, v21, 0x3dbcf732, v112
	s_delay_alu instid0(VALU_DEP_1) | instskip(SKIP_1) | instid1(VALU_DEP_1)
	v_add_f32_e32 v109, v113, v109
	v_mul_f32_e32 v113, 0xbf4c4adb, v89
	v_fma_f32 v114, 0xbf1a4643, v20, -v113
	s_delay_alu instid0(VALU_DEP_1) | instskip(SKIP_2) | instid1(VALU_DEP_2)
	v_add_f32_e32 v110, v114, v110
	v_mul_f32_e32 v114, 0xbf4c4adb, v87
	v_fmac_f32_e32 v81, 0xbf1a4643, v68
	v_fmamk_f32 v115, v22, 0xbf1a4643, v114
	s_delay_alu instid0(VALU_DEP_1) | instskip(SKIP_1) | instid1(VALU_DEP_1)
	v_add_f32_e32 v109, v115, v109
	v_mul_f32_e32 v115, 0xbe3c28d5, v73
	v_fma_f32 v116, 0xbf7ba420, v56, -v115
	s_delay_alu instid0(VALU_DEP_1) | instskip(SKIP_1) | instid1(VALU_DEP_1)
	v_add_f32_e32 v110, v116, v110
	v_mul_f32_e32 v116, 0xbe3c28d5, v63
	v_fmamk_f32 v117, v48, 0xbf7ba420, v116
	s_delay_alu instid0(VALU_DEP_1) | instskip(SKIP_1) | instid1(VALU_DEP_1)
	v_add_f32_e32 v109, v117, v109
	v_mul_f32_e32 v117, 0x3f06c442, v59
	v_fma_f32 v118, 0xbf59a7d5, v49, -v117
	s_delay_alu instid0(VALU_DEP_1) | instskip(SKIP_1) | instid1(VALU_DEP_1)
	v_add_f32_e32 v110, v118, v110
	v_mul_f32_e32 v118, 0x3f06c442, v58
	;; [unrolled: 8-line block ×3, first 2 shown]
	v_fmamk_f32 v121, v60, 0xbe8c1d8e, v120
	s_delay_alu instid0(VALU_DEP_1) | instskip(SKIP_1) | instid1(VALU_DEP_1)
	v_add_f32_e32 v109, v121, v109
	v_mul_f32_e32 v121, 0x3f65296c, v71
	v_fma_f32 v122, 0x3ee437d1, v61, -v121
	s_delay_alu instid0(VALU_DEP_1) | instskip(SKIP_3) | instid1(VALU_DEP_1)
	v_add_f32_e32 v110, v122, v110
	v_mul_f32_e32 v122, 0x3f65296c, v72
	v_fmac_f32_e32 v113, 0xbf1a4643, v20
	v_fmac_f32_e32 v111, 0x3dbcf732, v51
	v_dual_fmamk_f32 v123, v62, 0x3ee437d1, v122 :: v_dual_add_f32 v46, v111, v46
	s_delay_alu instid0(VALU_DEP_1) | instskip(SKIP_1) | instid1(VALU_DEP_3)
	v_add_f32_e32 v123, v123, v109
	v_fma_f32 v109, 0x3f6eb680, v2, -v124
	v_add_f32_e32 v46, v113, v46
	v_fmac_f32_e32 v124, 0x3f6eb680, v2
	s_delay_alu instid0(VALU_DEP_3) | instskip(NEXT) | instid1(VALU_DEP_1)
	v_dual_add_f32 v109, v109, v110 :: v_dual_fmamk_f32 v110, v3, 0x3f6eb680, v125
	v_dual_add_f32 v110, v110, v123 :: v_dual_mul_f32 v123, 0xbf4c4adb, v90
	s_delay_alu instid0(VALU_DEP_1) | instskip(NEXT) | instid1(VALU_DEP_1)
	v_fma_f32 v126, 0xbf1a4643, v51, -v123
	v_add_f32_e32 v108, v126, v108
	v_mul_f32_e32 v126, 0xbf4c4adb, v88
	v_fmac_f32_e32 v115, 0xbf7ba420, v56
	v_fmac_f32_e32 v123, 0xbf1a4643, v51
	s_delay_alu instid0(VALU_DEP_1) | instskip(NEXT) | instid1(VALU_DEP_1)
	v_dual_fmamk_f32 v127, v21, 0xbf1a4643, v126 :: v_dual_add_f32 v44, v123, v44
	v_add_f32_e32 v107, v127, v107
	v_mul_f32_e32 v127, 0x3e3c28d5, v89
	s_delay_alu instid0(VALU_DEP_1) | instskip(NEXT) | instid1(VALU_DEP_1)
	v_fma_f32 v128, 0xbf7ba420, v20, -v127
	v_add_f32_e32 v108, v128, v108
	v_mul_f32_e32 v128, 0x3e3c28d5, v87
	v_fmac_f32_e32 v127, 0xbf7ba420, v20
	s_delay_alu instid0(VALU_DEP_2) | instskip(NEXT) | instid1(VALU_DEP_1)
	v_fmamk_f32 v129, v22, 0xbf7ba420, v128
	v_add_f32_e32 v107, v129, v107
	v_mul_f32_e32 v129, 0x3f763a35, v73
	s_delay_alu instid0(VALU_DEP_1) | instskip(NEXT) | instid1(VALU_DEP_1)
	v_fma_f32 v130, 0xbe8c1d8e, v56, -v129
	v_add_f32_e32 v108, v130, v108
	v_mul_f32_e32 v130, 0x3f763a35, v63
	s_delay_alu instid0(VALU_DEP_1) | instskip(NEXT) | instid1(VALU_DEP_1)
	v_fmamk_f32 v131, v48, 0xbe8c1d8e, v130
	v_add_f32_e32 v107, v131, v107
	v_mul_f32_e32 v131, 0x3f2c7751, v59
	s_delay_alu instid0(VALU_DEP_1) | instskip(NEXT) | instid1(VALU_DEP_1)
	v_fma_f32 v132, 0x3f3d2fb0, v49, -v131
	v_add_f32_e32 v108, v132, v108
	v_mul_f32_e32 v132, 0x3f2c7751, v58
	v_dual_add_f32 v46, v115, v46 :: v_dual_fmac_f32 v117, 0xbf59a7d5, v49
	s_delay_alu instid0(VALU_DEP_2) | instskip(NEXT) | instid1(VALU_DEP_1)
	v_fmamk_f32 v133, v50, 0x3f3d2fb0, v132
	v_add_f32_e32 v107, v133, v107
	v_mul_f32_e32 v133, 0xbeb8f4ab, v69
	s_delay_alu instid0(VALU_DEP_1) | instskip(NEXT) | instid1(VALU_DEP_1)
	v_fma_f32 v134, 0x3f6eb680, v68, -v133
	v_add_f32_e32 v108, v134, v108
	v_mul_f32_e32 v134, 0xbeb8f4ab, v70
	s_delay_alu instid0(VALU_DEP_1) | instskip(NEXT) | instid1(VALU_DEP_1)
	v_fmamk_f32 v135, v60, 0x3f6eb680, v134
	v_add_f32_e32 v107, v135, v107
	v_mul_f32_e32 v135, 0xbf7ee86f, v71
	s_delay_alu instid0(VALU_DEP_1) | instskip(NEXT) | instid1(VALU_DEP_1)
	v_fma_f32 v173, 0x3dbcf732, v61, -v135
	v_add_f32_e32 v108, v173, v108
	v_mul_f32_e32 v173, 0xbf7ee86f, v72
	s_delay_alu instid0(VALU_DEP_1) | instskip(NEXT) | instid1(VALU_DEP_1)
	v_fmamk_f32 v174, v62, 0x3dbcf732, v173
	v_add_f32_e32 v174, v174, v107
	v_fma_f32 v107, 0xbf59a7d5, v2, -v175
	s_delay_alu instid0(VALU_DEP_1) | instskip(SKIP_1) | instid1(VALU_DEP_1)
	v_add_f32_e32 v107, v107, v108
	v_fmamk_f32 v108, v3, 0xbf59a7d5, v176
	v_add_f32_e32 v108, v108, v174
	v_mul_lo_u16 v174, v150, 17
	s_delay_alu instid0(VALU_DEP_1) | instskip(NEXT) | instid1(VALU_DEP_1)
	v_and_b32_e32 v174, 0xffff, v174
	v_lshl_add_u32 v184, v174, 3, v172
	ds_store_2addr_b64 v184, v[4:5], v[0:1] offset1:1
	ds_store_2addr_b64 v184, v[109:110], v[107:108] offset0:2 offset1:3
	v_mul_f32_e32 v107, 0xbe3c28d5, v90
	v_mul_f32_e32 v108, 0x3f763a35, v87
	v_dual_mul_f32 v109, 0x3eb8f4ab, v73 :: v_dual_mul_f32 v110, 0x3eb8f4ab, v63
	v_mul_f32_e32 v174, 0xbf65296c, v59
	s_delay_alu instid0(VALU_DEP_4) | instskip(NEXT) | instid1(VALU_DEP_1)
	v_fma_f32 v0, 0xbf7ba420, v51, -v107
	v_dual_fmac_f32 v129, 0xbe8c1d8e, v56 :: v_dual_add_f32 v0, v0, v105
	v_mul_f32_e32 v105, 0xbe3c28d5, v88
	s_delay_alu instid0(VALU_DEP_1) | instskip(NEXT) | instid1(VALU_DEP_1)
	v_fmamk_f32 v1, v21, 0xbf7ba420, v105
	v_dual_add_f32 v1, v1, v104 :: v_dual_mul_f32 v104, 0x3f763a35, v89
	s_delay_alu instid0(VALU_DEP_1) | instskip(SKIP_1) | instid1(VALU_DEP_2)
	v_fma_f32 v4, 0xbe8c1d8e, v20, -v104
	v_fmac_f32_e32 v104, 0xbe8c1d8e, v20
	v_add_f32_e32 v0, v4, v0
	v_fmamk_f32 v4, v22, 0xbe8c1d8e, v108
	s_delay_alu instid0(VALU_DEP_1) | instskip(SKIP_1) | instid1(VALU_DEP_1)
	v_add_f32_e32 v1, v4, v1
	v_fma_f32 v4, 0x3f6eb680, v56, -v109
	v_add_f32_e32 v0, v4, v0
	v_fmamk_f32 v4, v48, 0x3f6eb680, v110
	s_delay_alu instid0(VALU_DEP_1) | instskip(SKIP_3) | instid1(VALU_DEP_3)
	v_add_f32_e32 v1, v4, v1
	v_fma_f32 v4, 0x3ee437d1, v49, -v174
	v_mul_f32_e32 v182, 0xbf65296c, v58
	v_fmac_f32_e32 v174, 0x3ee437d1, v49
	v_add_f32_e32 v0, v4, v0
	s_delay_alu instid0(VALU_DEP_3) | instskip(SKIP_2) | instid1(VALU_DEP_3)
	v_fmamk_f32 v4, v50, 0x3ee437d1, v182
	v_dual_add_f32 v44, v127, v44 :: v_dual_fmac_f32 v131, 0x3f3d2fb0, v49
	v_mul_f32_e32 v127, 0x3f2c7751, v232
	v_add_f32_e32 v1, v4, v1
	v_fma_f32 v4, 0xbf59a7d5, v68, -v183
	s_delay_alu instid0(VALU_DEP_4) | instskip(NEXT) | instid1(VALU_DEP_2)
	v_add_f32_e32 v44, v129, v44
	v_add_f32_e32 v0, v4, v0
	v_fmamk_f32 v4, v60, 0xbf59a7d5, v185
	s_delay_alu instid0(VALU_DEP_1) | instskip(SKIP_2) | instid1(VALU_DEP_2)
	v_add_f32_e32 v1, v4, v1
	v_fma_f32 v4, 0xbf1a4643, v61, -v186
	v_fmac_f32_e32 v186, 0xbf1a4643, v61
	v_add_f32_e32 v0, v4, v0
	v_fmamk_f32 v4, v62, 0xbf1a4643, v187
	v_fmac_f32_e32 v133, 0x3f6eb680, v68
	s_delay_alu instid0(VALU_DEP_2) | instskip(SKIP_2) | instid1(VALU_DEP_2)
	v_add_f32_e32 v1, v4, v1
	v_fma_f32 v4, 0x3f3d2fb0, v2, -v188
	v_fmac_f32_e32 v188, 0x3f3d2fb0, v2
	v_add_f32_e32 v0, v4, v0
	v_fmamk_f32 v4, v3, 0x3f3d2fb0, v189
	v_dual_add_f32 v44, v131, v44 :: v_dual_fmac_f32 v135, 0x3dbcf732, v61
	s_delay_alu instid0(VALU_DEP_2) | instskip(SKIP_2) | instid1(VALU_DEP_2)
	v_add_f32_e32 v1, v4, v1
	v_fma_f32 v4, 0xbf59a7d5, v51, -v190
	v_fmac_f32_e32 v190, 0xbf59a7d5, v51
	v_dual_add_f32 v4, v4, v103 :: v_dual_mul_f32 v103, 0x3f06c442, v88
	s_delay_alu instid0(VALU_DEP_1) | instskip(NEXT) | instid1(VALU_DEP_1)
	v_fmamk_f32 v5, v21, 0xbf59a7d5, v103
	v_dual_add_f32 v5, v5, v102 :: v_dual_mul_f32 v102, 0x3f2c7751, v89
	s_delay_alu instid0(VALU_DEP_1) | instskip(NEXT) | instid1(VALU_DEP_1)
	v_fma_f32 v191, 0x3f3d2fb0, v20, -v102
	v_dual_add_f32 v4, v191, v4 :: v_dual_mul_f32 v191, 0x3f2c7751, v87
	v_fmac_f32_e32 v102, 0x3f3d2fb0, v20
	s_delay_alu instid0(VALU_DEP_2) | instskip(NEXT) | instid1(VALU_DEP_1)
	v_fmamk_f32 v192, v22, 0x3f3d2fb0, v191
	v_add_f32_e32 v5, v192, v5
	v_mul_f32_e32 v192, 0xbf65296c, v73
	s_delay_alu instid0(VALU_DEP_1) | instskip(NEXT) | instid1(VALU_DEP_1)
	v_fma_f32 v193, 0x3ee437d1, v56, -v192
	v_dual_add_f32 v4, v193, v4 :: v_dual_mul_f32 v193, 0xbf65296c, v63
	s_delay_alu instid0(VALU_DEP_1) | instskip(NEXT) | instid1(VALU_DEP_1)
	v_fmamk_f32 v194, v48, 0x3ee437d1, v193
	v_dual_add_f32 v5, v194, v5 :: v_dual_mul_f32 v194, 0xbe3c28d5, v59
	s_delay_alu instid0(VALU_DEP_1) | instskip(SKIP_1) | instid1(VALU_DEP_2)
	v_fma_f32 v195, 0xbf7ba420, v49, -v194
	v_fmac_f32_e32 v194, 0xbf7ba420, v49
	v_dual_add_f32 v4, v195, v4 :: v_dual_mul_f32 v195, 0xbe3c28d5, v58
	s_delay_alu instid0(VALU_DEP_1) | instskip(NEXT) | instid1(VALU_DEP_1)
	v_fmamk_f32 v196, v50, 0xbf7ba420, v195
	v_add_f32_e32 v5, v196, v5
	v_mul_f32_e32 v196, 0x3f7ee86f, v69
	s_delay_alu instid0(VALU_DEP_1) | instskip(NEXT) | instid1(VALU_DEP_1)
	v_fma_f32 v197, 0x3dbcf732, v68, -v196
	v_dual_add_f32 v4, v197, v4 :: v_dual_mul_f32 v197, 0x3f7ee86f, v70
	s_delay_alu instid0(VALU_DEP_1) | instskip(NEXT) | instid1(VALU_DEP_1)
	v_fmamk_f32 v198, v60, 0x3dbcf732, v197
	v_dual_add_f32 v5, v198, v5 :: v_dual_mul_f32 v198, 0xbeb8f4ab, v71
	s_delay_alu instid0(VALU_DEP_1) | instskip(NEXT) | instid1(VALU_DEP_1)
	v_fma_f32 v199, 0x3f6eb680, v61, -v198
	v_add_f32_e32 v4, v199, v4
	v_mul_f32_e32 v199, 0xbeb8f4ab, v72
	v_dual_fmac_f32 v109, 0x3f6eb680, v56 :: v_dual_fmac_f32 v198, 0x3f6eb680, v61
	v_fmac_f32_e32 v107, 0xbf7ba420, v51
	v_fmac_f32_e32 v183, 0xbf59a7d5, v68
	s_delay_alu instid0(VALU_DEP_4) | instskip(NEXT) | instid1(VALU_DEP_1)
	v_fmamk_f32 v200, v62, 0x3f6eb680, v199
	v_dual_add_f32 v5, v200, v5 :: v_dual_mul_f32 v200, 0xbf4c4adb, v100
	s_delay_alu instid0(VALU_DEP_1) | instskip(NEXT) | instid1(VALU_DEP_1)
	v_fma_f32 v201, 0xbf1a4643, v2, -v200
	v_dual_add_f32 v4, v201, v4 :: v_dual_mul_f32 v201, 0xbf4c4adb, v101
	s_delay_alu instid0(VALU_DEP_1) | instskip(NEXT) | instid1(VALU_DEP_1)
	v_fmamk_f32 v202, v3, 0xbf1a4643, v201
	v_dual_add_f32 v5, v202, v5 :: v_dual_mul_f32 v202, 0x3f763a35, v90
	s_delay_alu instid0(VALU_DEP_1) | instskip(NEXT) | instid1(VALU_DEP_1)
	v_fma_f32 v203, 0xbe8c1d8e, v51, -v202
	v_add_f32_e32 v99, v203, v99
	v_mul_f32_e32 v203, 0x3f763a35, v88
	s_delay_alu instid0(VALU_DEP_1) | instskip(NEXT) | instid1(VALU_DEP_1)
	v_fmamk_f32 v204, v21, 0xbe8c1d8e, v203
	v_add_f32_e32 v98, v204, v98
	v_mul_f32_e32 v204, 0xbeb8f4ab, v89
	v_fmac_f32_e32 v175, 0xbf59a7d5, v2
	s_delay_alu instid0(VALU_DEP_2) | instskip(NEXT) | instid1(VALU_DEP_1)
	v_fma_f32 v205, 0x3f6eb680, v20, -v204
	v_add_f32_e32 v99, v205, v99
	v_mul_f32_e32 v205, 0xbeb8f4ab, v87
	v_fmac_f32_e32 v204, 0x3f6eb680, v20
	s_delay_alu instid0(VALU_DEP_2) | instskip(NEXT) | instid1(VALU_DEP_1)
	v_fmamk_f32 v206, v22, 0x3f6eb680, v205
	v_add_f32_e32 v98, v206, v98
	v_mul_f32_e32 v206, 0xbf06c442, v73
	s_delay_alu instid0(VALU_DEP_1) | instskip(NEXT) | instid1(VALU_DEP_1)
	v_fma_f32 v207, 0xbf59a7d5, v56, -v206
	v_add_f32_e32 v99, v207, v99
	v_mul_f32_e32 v207, 0xbf06c442, v63
	v_fmac_f32_e32 v206, 0xbf59a7d5, v56
	s_delay_alu instid0(VALU_DEP_2) | instskip(NEXT) | instid1(VALU_DEP_1)
	v_fmamk_f32 v208, v48, 0xbf59a7d5, v207
	v_add_f32_e32 v98, v208, v98
	v_mul_f32_e32 v208, 0x3f7ee86f, v59
	s_delay_alu instid0(VALU_DEP_1) | instskip(NEXT) | instid1(VALU_DEP_1)
	v_fma_f32 v209, 0x3dbcf732, v49, -v208
	v_add_f32_e32 v99, v209, v99
	v_mul_f32_e32 v209, 0x3f7ee86f, v58
	v_fmac_f32_e32 v208, 0x3dbcf732, v49
	s_delay_alu instid0(VALU_DEP_2) | instskip(NEXT) | instid1(VALU_DEP_1)
	v_fmamk_f32 v210, v50, 0x3dbcf732, v209
	v_add_f32_e32 v98, v210, v98
	v_mul_f32_e32 v210, 0xbf2c7751, v69
	s_delay_alu instid0(VALU_DEP_1) | instskip(NEXT) | instid1(VALU_DEP_1)
	v_fma_f32 v211, 0x3f3d2fb0, v68, -v210
	v_add_f32_e32 v99, v211, v99
	v_mul_f32_e32 v211, 0xbf2c7751, v70
	s_delay_alu instid0(VALU_DEP_1) | instskip(NEXT) | instid1(VALU_DEP_1)
	v_fmamk_f32 v212, v60, 0x3f3d2fb0, v211
	v_add_f32_e32 v98, v212, v98
	v_mul_f32_e32 v212, 0xbe3c28d5, v71
	s_delay_alu instid0(VALU_DEP_1) | instskip(NEXT) | instid1(VALU_DEP_1)
	v_fma_f32 v213, 0xbf7ba420, v61, -v212
	v_add_f32_e32 v99, v213, v99
	v_mul_f32_e32 v213, 0xbe3c28d5, v72
	s_delay_alu instid0(VALU_DEP_1) | instskip(NEXT) | instid1(VALU_DEP_1)
	v_fmamk_f32 v214, v62, 0xbf7ba420, v213
	v_add_f32_e32 v214, v214, v98
	v_fma_f32 v98, 0x3ee437d1, v2, -v215
	s_delay_alu instid0(VALU_DEP_1) | instskip(SKIP_1) | instid1(VALU_DEP_1)
	v_dual_fmac_f32 v215, 0x3ee437d1, v2 :: v_dual_add_f32 v98, v98, v99
	v_fmamk_f32 v99, v3, 0x3ee437d1, v216
	v_add_f32_e32 v99, v99, v214
	v_mul_f32_e32 v214, 0x3f65296c, v90
	s_delay_alu instid0(VALU_DEP_1) | instskip(NEXT) | instid1(VALU_DEP_1)
	v_fma_f32 v217, 0x3ee437d1, v51, -v214
	v_add_f32_e32 v97, v217, v97
	v_mul_f32_e32 v217, 0x3f65296c, v88
	s_delay_alu instid0(VALU_DEP_1) | instskip(NEXT) | instid1(VALU_DEP_1)
	v_fmamk_f32 v218, v21, 0x3ee437d1, v217
	v_add_f32_e32 v96, v218, v96
	v_mul_f32_e32 v218, 0xbf7ee86f, v89
	s_delay_alu instid0(VALU_DEP_1) | instskip(NEXT) | instid1(VALU_DEP_1)
	v_fma_f32 v219, 0x3dbcf732, v20, -v218
	v_add_f32_e32 v97, v219, v97
	v_mul_f32_e32 v219, 0xbf7ee86f, v87
	v_mul_f32_e32 v87, 0xbf06c442, v87
	s_delay_alu instid0(VALU_DEP_2) | instskip(NEXT) | instid1(VALU_DEP_1)
	v_fmamk_f32 v220, v22, 0x3dbcf732, v219
	v_add_f32_e32 v96, v220, v96
	v_mul_f32_e32 v220, 0x3f4c4adb, v73
	v_mul_f32_e32 v73, 0x3f2c7751, v73
	s_delay_alu instid0(VALU_DEP_2) | instskip(NEXT) | instid1(VALU_DEP_1)
	v_fma_f32 v221, 0xbf1a4643, v56, -v220
	v_add_f32_e32 v97, v221, v97
	v_mul_f32_e32 v221, 0x3f4c4adb, v63
	v_mul_f32_e32 v63, 0x3f2c7751, v63
	s_delay_alu instid0(VALU_DEP_2) | instskip(NEXT) | instid1(VALU_DEP_1)
	v_fmamk_f32 v222, v48, 0xbf1a4643, v221
	v_add_f32_e32 v96, v222, v96
	v_mul_f32_e32 v222, 0xbeb8f4ab, v59
	s_delay_alu instid0(VALU_DEP_1) | instskip(NEXT) | instid1(VALU_DEP_1)
	v_fma_f32 v223, 0x3f6eb680, v49, -v222
	v_add_f32_e32 v97, v223, v97
	v_mul_f32_e32 v223, 0xbeb8f4ab, v58
	v_mul_f32_e32 v58, 0xbf4c4adb, v58
	s_delay_alu instid0(VALU_DEP_2) | instskip(NEXT) | instid1(VALU_DEP_1)
	v_fmamk_f32 v224, v50, 0x3f6eb680, v223
	v_add_f32_e32 v96, v224, v96
	v_mul_f32_e32 v224, 0xbe3c28d5, v69
	s_delay_alu instid0(VALU_DEP_1) | instskip(NEXT) | instid1(VALU_DEP_1)
	v_fma_f32 v225, 0xbf7ba420, v68, -v224
	v_add_f32_e32 v97, v225, v97
	v_mul_f32_e32 v225, 0xbe3c28d5, v70
	v_mul_f32_e32 v70, 0x3f65296c, v70
	s_delay_alu instid0(VALU_DEP_2) | instskip(NEXT) | instid1(VALU_DEP_1)
	v_fmamk_f32 v226, v60, 0xbf7ba420, v225
	v_add_f32_e32 v96, v226, v96
	v_mul_f32_e32 v226, 0x3f2c7751, v71
	v_mul_f32_e32 v71, 0xbf763a35, v71
	s_delay_alu instid0(VALU_DEP_2) | instskip(NEXT) | instid1(VALU_DEP_1)
	v_fma_f32 v227, 0x3f3d2fb0, v61, -v226
	v_add_f32_e32 v97, v227, v97
	v_mul_f32_e32 v227, 0x3f2c7751, v72
	v_mul_f32_e32 v229, 0xbf763a35, v100
	v_fmac_f32_e32 v226, 0x3f3d2fb0, v61
	s_delay_alu instid0(VALU_DEP_3) | instskip(NEXT) | instid1(VALU_DEP_1)
	v_fmamk_f32 v228, v62, 0x3f3d2fb0, v227
	v_add_f32_e32 v228, v228, v96
	s_delay_alu instid0(VALU_DEP_4) | instskip(NEXT) | instid1(VALU_DEP_1)
	v_fma_f32 v96, 0xbe8c1d8e, v2, -v229
	v_dual_add_f32 v96, v96, v97 :: v_dual_fmamk_f32 v97, v3, 0xbe8c1d8e, v230
	v_fmac_f32_e32 v229, 0xbe8c1d8e, v2
	s_delay_alu instid0(VALU_DEP_2)
	v_add_f32_e32 v97, v97, v228
	ds_store_2addr_b64 v184, v[0:1], v[4:5] offset0:4 offset1:5
	ds_store_2addr_b64 v184, v[98:99], v[96:97] offset0:6 offset1:7
	v_dual_mul_f32 v4, 0x3eb8f4ab, v90 :: v_dual_mul_f32 v5, 0x3eb8f4ab, v88
	v_mul_f32_e32 v88, 0xbf06c442, v89
	v_mul_f32_e32 v90, 0x3f7ee86f, v101
	v_sub_f32_e32 v228, v43, v25
	s_delay_alu instid0(VALU_DEP_4) | instskip(SKIP_4) | instid1(VALU_DEP_4)
	v_fma_f32 v0, 0x3f6eb680, v51, -v4
	v_fmamk_f32 v1, v21, 0x3f6eb680, v5
	v_fma_f32 v89, 0xbf59a7d5, v20, -v88
	v_fma_f32 v5, 0x3f6eb680, v21, -v5
	v_fmac_f32_e32 v88, 0xbf59a7d5, v20
	v_dual_add_f32 v0, v0, v95 :: v_dual_add_f32 v1, v1, v94
	v_fmac_f32_e32 v220, 0xbf1a4643, v56
	s_delay_alu instid0(VALU_DEP_4) | instskip(NEXT) | instid1(VALU_DEP_3)
	v_dual_add_f32 v5, v5, v92 :: v_dual_fmac_f32 v214, 0x3ee437d1, v51
	v_dual_add_f32 v0, v89, v0 :: v_dual_fmamk_f32 v89, v22, 0xbf59a7d5, v87
	v_fma_f32 v87, 0xbf59a7d5, v22, -v87
	v_mul_f32_e32 v72, 0xbf763a35, v72
	s_delay_alu instid0(VALU_DEP_4) | instskip(NEXT) | instid1(VALU_DEP_4)
	v_dual_fmac_f32 v202, 0xbe8c1d8e, v51 :: v_dual_add_f32 v57, v214, v57
	v_add_f32_e32 v1, v89, v1
	v_fma_f32 v89, 0x3f3d2fb0, v56, -v73
	v_add_f32_e32 v5, v87, v5
	v_fmac_f32_e32 v73, 0x3f3d2fb0, v56
	v_fmac_f32_e32 v224, 0xbf7ba420, v68
	v_mul_f32_e32 v131, 0x3e3c28d5, v228
	v_dual_add_f32 v0, v89, v0 :: v_dual_fmamk_f32 v89, v48, 0x3f3d2fb0, v63
	v_mul_f32_e32 v59, 0xbf4c4adb, v59
	v_fma_f32 v63, 0x3f3d2fb0, v48, -v63
	v_fmac_f32_e32 v4, 0x3f6eb680, v51
	s_delay_alu instid0(VALU_DEP_4) | instskip(NEXT) | instid1(VALU_DEP_4)
	v_dual_mul_f32 v98, 0x3f763a35, v228 :: v_dual_add_f32 v1, v89, v1
	v_fma_f32 v89, 0xbf1a4643, v49, -v59
	s_delay_alu instid0(VALU_DEP_4) | instskip(NEXT) | instid1(VALU_DEP_4)
	v_add_f32_e32 v5, v63, v5
	v_add_f32_e32 v4, v4, v93
	v_fma_f32 v63, 0x3f6eb680, v22, -v205
	v_mul_f32_e32 v95, 0x3f4c4adb, v236
	v_dual_add_f32 v0, v89, v0 :: v_dual_fmamk_f32 v89, v50, 0xbf1a4643, v58
	s_delay_alu instid0(VALU_DEP_4) | instskip(SKIP_2) | instid1(VALU_DEP_4)
	v_dual_mul_f32 v69, 0x3f65296c, v69 :: v_dual_add_f32 v4, v88, v4
	v_fmac_f32_e32 v59, 0xbf1a4643, v49
	v_mul_f32_e32 v115, 0xbeb8f4ab, v228
	v_add_f32_e32 v1, v89, v1
	s_delay_alu instid0(VALU_DEP_4) | instskip(SKIP_3) | instid1(VALU_DEP_4)
	v_fma_f32 v89, 0x3ee437d1, v68, -v69
	v_add_f32_e32 v4, v73, v4
	v_mul_f32_e32 v92, 0x3f65296c, v237
	v_mul_f32_e32 v96, 0xbf06c442, v234
	v_dual_add_f32 v0, v89, v0 :: v_dual_fmamk_f32 v89, v60, 0x3ee437d1, v70
	s_delay_alu instid0(VALU_DEP_4) | instskip(SKIP_1) | instid1(VALU_DEP_3)
	v_add_f32_e32 v4, v59, v4
	v_fma_f32 v59, 0xbe8c1d8e, v21, -v203
	v_add_f32_e32 v1, v89, v1
	v_fma_f32 v89, 0xbe8c1d8e, v61, -v71
	v_fmac_f32_e32 v71, 0xbe8c1d8e, v61
	s_delay_alu instid0(VALU_DEP_2) | instskip(SKIP_1) | instid1(VALU_DEP_1)
	v_dual_add_f32 v59, v59, v79 :: v_dual_add_f32 v0, v89, v0
	v_fmamk_f32 v89, v62, 0xbe8c1d8e, v72
	v_add_f32_e32 v1, v89, v1
	v_mul_f32_e32 v89, 0x3f7ee86f, v100
	v_fma_f32 v58, 0xbf1a4643, v50, -v58
	v_mul_f32_e32 v100, 0xbf65296c, v232
	s_delay_alu instid0(VALU_DEP_3) | instskip(NEXT) | instid1(VALU_DEP_3)
	v_fma_f32 v94, 0x3dbcf732, v2, -v89
	v_add_f32_e32 v5, v58, v5
	s_delay_alu instid0(VALU_DEP_2) | instskip(SKIP_1) | instid1(VALU_DEP_1)
	v_dual_fmac_f32 v89, 0x3dbcf732, v2 :: v_dual_add_f32 v0, v94, v0
	v_fmamk_f32 v94, v3, 0x3dbcf732, v90
	v_add_f32_e32 v1, v94, v1
	v_fma_f32 v58, 0x3ee437d1, v60, -v70
	s_delay_alu instid0(VALU_DEP_1) | instskip(SKIP_1) | instid1(VALU_DEP_1)
	v_add_f32_e32 v5, v58, v5
	v_fma_f32 v58, 0xbe8c1d8e, v62, -v72
	v_add_f32_e32 v5, v58, v5
	v_fma_f32 v58, 0x3dbcf732, v3, -v90
	v_mul_f32_e32 v90, 0x3f06c442, v233
	s_delay_alu instid0(VALU_DEP_2) | instskip(SKIP_1) | instid1(VALU_DEP_1)
	v_add_f32_e32 v5, v58, v5
	v_dual_add_f32 v58, v202, v82 :: v_dual_fmac_f32 v69, 0x3ee437d1, v68
	v_dual_add_f32 v58, v204, v58 :: v_dual_add_f32 v59, v63, v59
	v_fma_f32 v63, 0xbf59a7d5, v48, -v207
	s_delay_alu instid0(VALU_DEP_3) | instskip(SKIP_1) | instid1(VALU_DEP_3)
	v_add_f32_e32 v4, v69, v4
	v_mul_f32_e32 v204, 0xbf65296c, v231
	v_dual_add_f32 v58, v206, v58 :: v_dual_add_f32 v59, v63, v59
	v_fma_f32 v63, 0x3dbcf732, v50, -v209
	s_delay_alu instid0(VALU_DEP_4) | instskip(NEXT) | instid1(VALU_DEP_2)
	v_add_f32_e32 v4, v71, v4
	v_dual_add_f32 v58, v208, v58 :: v_dual_add_f32 v59, v63, v59
	v_fma_f32 v63, 0x3f3d2fb0, v60, -v211
	v_fmac_f32_e32 v210, 0x3f3d2fb0, v68
	s_delay_alu instid0(VALU_DEP_4) | instskip(SKIP_1) | instid1(VALU_DEP_4)
	v_dual_add_f32 v4, v89, v4 :: v_dual_mul_f32 v89, 0xbe3c28d5, v231
	v_mul_f32_e32 v211, 0xbeb8f4ab, v232
	v_add_f32_e32 v59, v63, v59
	v_fma_f32 v63, 0xbf7ba420, v62, -v213
	v_dual_add_f32 v58, v210, v58 :: v_dual_mul_f32 v213, 0xbf7ee86f, v228
	s_delay_alu instid0(VALU_DEP_2) | instskip(SKIP_1) | instid1(VALU_DEP_1)
	v_dual_mul_f32 v210, 0xbe3c28d5, v234 :: v_dual_add_f32 v59, v63, v59
	v_fma_f32 v63, 0x3ee437d1, v3, -v216
	v_dual_fmac_f32 v212, 0xbf7ba420, v61 :: v_dual_add_f32 v59, v63, v59
	v_fma_f32 v63, 0x3ee437d1, v21, -v217
	s_delay_alu instid0(VALU_DEP_1) | instskip(SKIP_1) | instid1(VALU_DEP_1)
	v_dual_add_f32 v58, v212, v58 :: v_dual_add_f32 v55, v63, v55
	v_fma_f32 v63, 0x3dbcf732, v22, -v219
	v_dual_fmac_f32 v218, 0x3dbcf732, v20 :: v_dual_add_f32 v55, v63, v55
	v_fma_f32 v63, 0xbf1a4643, v48, -v221
	s_delay_alu instid0(VALU_DEP_2) | instskip(NEXT) | instid1(VALU_DEP_2)
	v_dual_add_f32 v58, v215, v58 :: v_dual_add_f32 v57, v218, v57
	v_dual_mul_f32 v218, 0x3f2c7751, v237 :: v_dual_add_f32 v55, v63, v55
	v_fma_f32 v63, 0x3f6eb680, v50, -v223
	s_delay_alu instid0(VALU_DEP_3) | instskip(SKIP_2) | instid1(VALU_DEP_4)
	v_add_f32_e32 v57, v220, v57
	v_dual_fmac_f32 v222, 0x3f6eb680, v49 :: v_dual_add_f32 v49, v12, v34
	v_mul_f32_e32 v223, 0xbeb8f4ab, v233
	v_add_f32_e32 v55, v63, v55
	v_fma_f32 v63, 0xbf7ba420, v60, -v225
	s_delay_alu instid0(VALU_DEP_4) | instskip(NEXT) | instid1(VALU_DEP_2)
	v_dual_add_f32 v57, v222, v57 :: v_dual_mul_f32 v222, 0x3f4c4adb, v231
	v_add_f32_e32 v55, v63, v55
	v_fma_f32 v63, 0x3f3d2fb0, v62, -v227
	s_delay_alu instid0(VALU_DEP_1) | instskip(SKIP_2) | instid1(VALU_DEP_2)
	v_add_f32_e32 v55, v63, v55
	v_fma_f32 v63, 0xbe8c1d8e, v3, -v230
	v_dual_add_f32 v57, v224, v57 :: v_dual_sub_f32 v230, v37, v19
	v_dual_mul_f32 v209, 0x3f2c7751, v236 :: v_dual_add_f32 v70, v63, v55
	s_delay_alu instid0(VALU_DEP_2) | instskip(SKIP_1) | instid1(VALU_DEP_4)
	v_add_f32_e32 v57, v226, v57
	v_add_f32_e32 v55, v31, v29
	v_mul_f32_e32 v99, 0x3eb8f4ab, v230
	v_mul_f32_e32 v212, 0x3f4c4adb, v230
	;; [unrolled: 1-line block ×3, first 2 shown]
	v_add_f32_e32 v69, v229, v57
	ds_store_2addr_b64 v184, v[0:1], v[4:5] offset0:8 offset1:9
	ds_store_2addr_b64 v184, v[69:70], v[58:59] offset0:10 offset1:11
	v_add_f32_e32 v0, v107, v54
	v_fma_f32 v1, 0xbf7ba420, v21, -v105
	v_fma_f32 v5, 0xbf59a7d5, v21, -v103
	;; [unrolled: 1-line block ×3, first 2 shown]
	v_sub_f32_e32 v58, v11, v65
	v_add_f32_e32 v0, v104, v0
	v_add_f32_e32 v44, v133, v44
	;; [unrolled: 1-line block ×3, first 2 shown]
	v_fma_f32 v47, 0x3f3d2fb0, v22, -v191
	v_sub_f32_e32 v229, v42, v24
	v_add_f32_e32 v0, v109, v0
	v_dual_add_f32 v44, v135, v44 :: v_dual_add_f32 v57, v17, v39
	s_delay_alu instid0(VALU_DEP_4) | instskip(SKIP_1) | instid1(VALU_DEP_4)
	v_add_f32_e32 v5, v47, v5
	v_fma_f32 v47, 0x3ee437d1, v48, -v193
	v_dual_add_f32 v0, v174, v0 :: v_dual_add_f32 v1, v1, v53
	v_fmac_f32_e32 v192, 0x3ee437d1, v56
	v_add_f32_e32 v56, v19, v37
	s_delay_alu instid0(VALU_DEP_4) | instskip(NEXT) | instid1(VALU_DEP_4)
	v_add_f32_e32 v5, v47, v5
	v_dual_add_f32 v0, v183, v0 :: v_dual_add_f32 v1, v4, v1
	v_fma_f32 v4, 0x3f6eb680, v48, -v110
	v_fma_f32 v47, 0xbf7ba420, v50, -v195
	v_add_f32_e32 v54, v15, v33
	s_delay_alu instid0(VALU_DEP_4) | instskip(NEXT) | instid1(VALU_DEP_4)
	v_dual_add_f32 v0, v186, v0 :: v_dual_mul_f32 v71, 0xbf4c4adb, v235
	v_add_f32_e32 v1, v4, v1
	v_fma_f32 v4, 0x3ee437d1, v50, -v182
	s_delay_alu instid0(VALU_DEP_3) | instskip(SKIP_2) | instid1(VALU_DEP_4)
	v_dual_add_f32 v5, v47, v5 :: v_dual_add_f32 v0, v188, v0
	v_fma_f32 v47, 0x3dbcf732, v60, -v197
	v_sub_f32_e32 v182, v40, v26
	v_add_f32_e32 v1, v4, v1
	v_fma_f32 v4, 0xbf59a7d5, v60, -v185
	s_delay_alu instid0(VALU_DEP_4) | instskip(SKIP_1) | instid1(VALU_DEP_3)
	v_dual_mul_f32 v70, 0xbf06c442, v236 :: v_dual_add_f32 v5, v47, v5
	v_fma_f32 v47, 0x3f6eb680, v62, -v199
	v_dual_fmac_f32 v196, 0x3dbcf732, v68 :: v_dual_add_f32 v1, v4, v1
	v_fma_f32 v4, 0xbf1a4643, v62, -v187
	s_delay_alu instid0(VALU_DEP_3) | instskip(SKIP_2) | instid1(VALU_DEP_4)
	v_dual_mul_f32 v186, 0xbf2c7751, v58 :: v_dual_add_f32 v5, v47, v5
	v_fma_f32 v47, 0xbf1a4643, v3, -v201
	v_mul_f32_e32 v87, 0xbf7ee86f, v182
	v_add_f32_e32 v1, v4, v1
	v_fma_f32 v4, 0x3f3d2fb0, v3, -v189
	s_delay_alu instid0(VALU_DEP_4) | instskip(SKIP_1) | instid1(VALU_DEP_3)
	v_dual_mul_f32 v82, 0x3f763a35, v234 :: v_dual_add_f32 v5, v47, v5
	v_fma_f32 v47, 0x3dbcf732, v21, -v112
	v_dual_mul_f32 v188, 0xbf65296c, v58 :: v_dual_add_f32 v1, v4, v1
	v_add_f32_e32 v4, v190, v52
	v_fma_f32 v52, 0x3f6eb680, v3, -v125
	s_delay_alu instid0(VALU_DEP_4)
	v_add_f32_e32 v45, v47, v45
	v_fma_f32 v47, 0xbf1a4643, v22, -v114
	v_fmac_f32_e32 v200, 0xbf1a4643, v2
	v_add_f32_e32 v4, v102, v4
	v_fma_f32 v2, 0xbf7ba420, v3, -v91
	v_mul_f32_e32 v91, 0x3f763a35, v235
	v_add_f32_e32 v45, v47, v45
	v_fma_f32 v47, 0xbf7ba420, v48, -v116
	v_dual_add_f32 v4, v192, v4 :: v_dual_mul_f32 v101, 0xbe3c28d5, v182
	v_mul_f32_e32 v192, 0xbe3c28d5, v232
	v_mul_f32_e32 v201, 0xbf7ee86f, v58
	s_delay_alu instid0(VALU_DEP_3) | instskip(SKIP_3) | instid1(VALU_DEP_4)
	v_dual_add_f32 v45, v47, v45 :: v_dual_add_f32 v4, v194, v4
	v_fma_f32 v47, 0xbf59a7d5, v50, -v118
	v_add_f32_e32 v46, v117, v46
	v_mul_f32_e32 v118, 0xbeb8f4ab, v58
	v_dual_mul_f32 v185, 0x3f763a35, v231 :: v_dual_add_f32 v4, v196, v4
	s_delay_alu instid0(VALU_DEP_4) | instskip(SKIP_4) | instid1(VALU_DEP_4)
	v_add_f32_e32 v45, v47, v45
	v_fma_f32 v47, 0xbe8c1d8e, v60, -v120
	v_mul_f32_e32 v135, 0xbeb8f4ab, v235
	v_mul_f32_e32 v104, 0x3eb8f4ab, v231
	v_add_f32_e32 v4, v198, v4
	v_dual_mul_f32 v190, 0xbeb8f4ab, v236 :: v_dual_add_f32 v45, v47, v45
	v_fma_f32 v47, 0x3ee437d1, v62, -v122
	s_delay_alu instid0(VALU_DEP_3) | instskip(SKIP_1) | instid1(VALU_DEP_3)
	v_dual_mul_f32 v105, 0xbf65296c, v233 :: v_dual_add_f32 v4, v200, v4
	v_mul_f32_e32 v193, 0xbf65296c, v230
	v_dual_mul_f32 v206, 0xbf763a35, v58 :: v_dual_add_f32 v47, v47, v45
	v_fmac_f32_e32 v121, 0x3ee437d1, v61
	v_fmac_f32_e32 v119, 0xbe8c1d8e, v68
	v_mul_f32_e32 v68, 0xbf4c4adb, v234
	v_mul_f32_e32 v202, 0x3f06c442, v182
	;; [unrolled: 1-line block ×3, first 2 shown]
	s_delay_alu instid0(VALU_DEP_4)
	v_dual_mul_f32 v107, 0xbf06c442, v235 :: v_dual_add_f32 v46, v119, v46
	v_add_f32_e32 v119, v64, v10
	v_mul_f32_e32 v103, 0x3f4c4adb, v237
	v_mul_f32_e32 v194, 0x3f2c7751, v228
	v_dual_mul_f32 v191, 0x3f7ee86f, v234 :: v_dual_mul_f32 v114, 0x3f7ee86f, v232
	v_add_f32_e32 v46, v121, v46
	v_mul_f32_e32 v200, 0xbe3c28d5, v233
	v_mul_f32_e32 v198, 0xbeb8f4ab, v237
	;; [unrolled: 1-line block ×3, first 2 shown]
	s_delay_alu instid0(VALU_DEP_4)
	v_dual_mul_f32 v110, 0xbe3c28d5, v236 :: v_dual_add_f32 v45, v124, v46
	v_add_f32_e32 v46, v52, v47
	v_fma_f32 v47, 0xbf1a4643, v21, -v126
	v_add_f32_e32 v52, v175, v44
	v_add_f32_e32 v44, v26, v40
	v_mul_f32_e32 v126, 0xbeb8f4ab, v234
	s_delay_alu instid0(VALU_DEP_4)
	v_dual_mul_f32 v124, 0xbf7ee86f, v236 :: v_dual_add_f32 v23, v47, v23
	v_fma_f32 v47, 0xbf7ba420, v22, -v128
	v_mul_f32_e32 v175, 0x3f2c7751, v233
	v_mul_f32_e32 v220, 0x3f65296c, v182
	v_mul_f32_e32 v116, 0xbe3c28d5, v237
	v_mul_f32_e32 v199, 0x3f7ee86f, v235
	v_add_f32_e32 v23, v47, v23
	v_fma_f32 v47, 0xbe8c1d8e, v48, -v130
	v_add_f32_e32 v130, v65, v11
	v_mul_f32_e32 v224, 0xbf06c442, v58
	v_mul_f32_e32 v215, 0xbf4c4adb, v58
	;; [unrolled: 1-line block ×3, first 2 shown]
	v_add_f32_e32 v23, v47, v23
	v_fma_f32 v47, 0x3f3d2fb0, v50, -v132
	v_mul_f32_e32 v109, 0xbf2c7751, v234
	v_mul_f32_e32 v117, 0xbf2c7751, v235
	v_mul_f32_e32 v219, 0xbe3c28d5, v235
	v_mul_f32_e32 v235, 0x3f65296c, v235
	v_add_f32_e32 v23, v47, v23
	v_fma_f32 v47, 0x3f6eb680, v60, -v134
	s_delay_alu instid0(VALU_DEP_1) | instskip(SKIP_1) | instid1(VALU_DEP_1)
	v_dual_mul_f32 v234, 0x3f65296c, v234 :: v_dual_add_f32 v23, v47, v23
	v_fma_f32 v47, 0x3dbcf732, v62, -v173
	v_add_f32_e32 v23, v47, v23
	v_fma_f32 v47, 0xbf59a7d5, v3, -v176
	s_delay_alu instid0(VALU_DEP_1)
	v_dual_mul_f32 v176, 0xbf4c4adb, v182 :: v_dual_add_f32 v53, v47, v23
	ds_store_2addr_b64 v184, v[4:5], v[0:1] offset0:12 offset1:13
	ds_store_2addr_b64 v184, v[52:53], v[45:46] offset0:14 offset1:15
	v_fma_f32 v0, 0x3f3d2fb0, v21, -v74
	v_fma_f32 v4, 0x3ee437d1, v22, -v77
	v_add_f32_e32 v1, v66, v6
	v_dual_add_f32 v45, v24, v42 :: v_dual_add_f32 v46, v18, v36
	s_delay_alu instid0(VALU_DEP_4) | instskip(SKIP_1) | instid1(VALU_DEP_4)
	v_add_f32_e32 v0, v0, v7
	v_add_f32_e32 v47, v16, v38
	v_dual_add_f32 v1, v67, v1 :: v_dual_mul_f32 v66, 0xbf763a35, v232
	v_add_f32_e32 v52, v13, v35
	s_delay_alu instid0(VALU_DEP_4) | instskip(SKIP_1) | instid1(VALU_DEP_4)
	v_add_f32_e32 v0, v4, v0
	v_fma_f32 v4, 0x3dbcf732, v48, -v80
	v_dual_add_f32 v1, v75, v1 :: v_dual_add_f32 v48, v14, v32
	v_mul_f32_e32 v75, 0xbf4c4adb, v228
	v_mul_f32_e32 v80, 0xbe3c28d5, v230
	s_delay_alu instid0(VALU_DEP_4) | instskip(SKIP_4) | instid1(VALU_DEP_4)
	v_add_f32_e32 v0, v4, v0
	v_fma_f32 v4, 0xbe8c1d8e, v50, -v83
	v_add_f32_e32 v1, v78, v1
	v_mul_f32_e32 v83, 0x3f65296c, v236
	v_mul_f32_e32 v236, 0xbf763a35, v236
	v_add_f32_e32 v0, v4, v0
	v_fma_f32 v4, 0xbf1a4643, v60, -v85
	v_dual_mul_f32 v60, 0xbf65296c, v228 :: v_dual_add_f32 v51, v27, v41
	v_mul_f32_e32 v228, 0xbf06c442, v228
	s_delay_alu instid0(VALU_DEP_3) | instskip(SKIP_3) | instid1(VALU_DEP_3)
	v_add_f32_e32 v0, v4, v0
	v_fma_f32 v4, 0xbf59a7d5, v62, -v86
	v_dual_mul_f32 v62, 0xbf7ee86f, v230 :: v_dual_add_f32 v53, v25, v43
	v_mul_f32_e32 v88, 0xbf4c4adb, v229
	v_dual_mul_f32 v183, 0x3e3c28d5, v229 :: v_dual_add_f32 v0, v4, v0
	v_mul_f32_e32 v102, 0x3f763a35, v229
	v_mul_f32_e32 v123, 0xbeb8f4ab, v229
	;; [unrolled: 1-line block ×3, first 2 shown]
	s_delay_alu instid0(VALU_DEP_4) | instskip(SKIP_3) | instid1(VALU_DEP_4)
	v_dual_add_f32 v227, v2, v0 :: v_dual_fmamk_f32 v0, v119, 0x3f6eb680, v118
	v_add_f32_e32 v1, v81, v1
	v_mul_f32_e32 v81, 0x3f06c442, v232
	v_mul_f32_e32 v232, 0xbf4c4adb, v232
	v_add_f32_e32 v0, v0, v8
	s_delay_alu instid0(VALU_DEP_4) | instskip(NEXT) | instid1(VALU_DEP_1)
	v_add_f32_e32 v1, v84, v1
	v_dual_add_f32 v226, v76, v1 :: v_dual_sub_f32 v1, v41, v27
	ds_store_b64 v184, v[226:227] offset:128
	v_mul_f32_e32 v59, 0xbf2c7751, v1
	s_delay_alu instid0(VALU_DEP_1) | instskip(SKIP_2) | instid1(VALU_DEP_3)
	v_fmamk_f32 v2, v44, 0x3f3d2fb0, v59
	v_dual_add_f32 v50, v30, v28 :: v_dual_mul_f32 v73, 0xbf7ee86f, v1
	v_mul_f32_e32 v132, 0xbf4c4adb, v1
	v_dual_mul_f32 v97, 0xbe3c28d5, v1 :: v_dual_add_f32 v0, v2, v0
	v_dual_sub_f32 v2, v10, v64 :: v_dual_mul_f32 v61, 0xbf2c7751, v182
	v_mul_f32_e32 v195, 0x3f06c442, v1
	s_delay_alu instid0(VALU_DEP_3) | instskip(SKIP_1) | instid1(VALU_DEP_4)
	v_fmamk_f32 v20, v44, 0xbf7ba420, v97
	v_mul_f32_e32 v112, 0x3f763a35, v1
	v_mul_f32_e32 v129, 0xbeb8f4ab, v2
	v_fma_f32 v4, 0x3f3d2fb0, v51, -v61
	v_mul_f32_e32 v187, 0xbf2c7751, v2
	v_mul_f32_e32 v196, 0xbf65296c, v2
	;; [unrolled: 1-line block ×3, first 2 shown]
	v_fma_f32 v3, 0x3f6eb680, v130, -v129
	v_mul_f32_e32 v216, 0xbf4c4adb, v2
	v_mul_f32_e32 v207, 0xbf763a35, v2
	;; [unrolled: 1-line block ×3, first 2 shown]
	s_delay_alu instid0(VALU_DEP_4) | instskip(SKIP_2) | instid1(VALU_DEP_3)
	v_dual_fmamk_f32 v76, v44, 0xbe8c1d8e, v112 :: v_dual_add_f32 v3, v3, v9
	v_mul_f32_e32 v214, 0x3f65296c, v1
	v_mul_f32_e32 v225, 0xbf06c442, v2
	v_dual_add_f32 v3, v4, v3 :: v_dual_fmamk_f32 v4, v45, 0x3ee437d1, v60
	v_fma_f32 v5, 0x3dbcf732, v51, -v87
	v_fma_f32 v21, 0xbf7ba420, v51, -v101
	;; [unrolled: 1-line block ×3, first 2 shown]
	v_fmamk_f32 v240, v51, 0x3f6eb680, v182
	v_dual_add_f32 v0, v4, v0 :: v_dual_mul_f32 v63, 0xbf65296c, v229
	v_mul_f32_e32 v203, 0x3f2c7751, v229
	v_mul_f32_e32 v229, 0xbf06c442, v229
	s_delay_alu instid0(VALU_DEP_3) | instskip(NEXT) | instid1(VALU_DEP_1)
	v_fma_f32 v4, 0x3ee437d1, v53, -v63
	v_dual_add_f32 v3, v4, v3 :: v_dual_fmamk_f32 v4, v46, 0x3dbcf732, v62
	s_delay_alu instid0(VALU_DEP_1) | instskip(SKIP_1) | instid1(VALU_DEP_2)
	v_dual_add_f32 v0, v4, v0 :: v_dual_mul_f32 v67, 0xbf7ee86f, v231
	v_mul_f32_e32 v231, 0x3f2c7751, v231
	v_fma_f32 v4, 0x3dbcf732, v56, -v67
	s_delay_alu instid0(VALU_DEP_1) | instskip(NEXT) | instid1(VALU_DEP_1)
	v_dual_add_f32 v3, v4, v3 :: v_dual_fmamk_f32 v4, v47, 0xbe8c1d8e, v66
	v_dual_add_f32 v0, v4, v0 :: v_dual_mul_f32 v69, 0xbf763a35, v233
	v_mul_f32_e32 v233, 0xbf4c4adb, v233
	s_delay_alu instid0(VALU_DEP_2) | instskip(NEXT) | instid1(VALU_DEP_1)
	v_fma_f32 v4, 0xbe8c1d8e, v57, -v69
	v_add_f32_e32 v3, v4, v3
	v_fmamk_f32 v4, v48, 0xbf1a4643, v68
	s_delay_alu instid0(VALU_DEP_1) | instskip(SKIP_1) | instid1(VALU_DEP_1)
	v_add_f32_e32 v0, v4, v0
	v_fma_f32 v4, 0xbf1a4643, v54, -v71
	v_dual_add_f32 v3, v4, v3 :: v_dual_fmamk_f32 v4, v49, 0xbf59a7d5, v70
	v_mul_f32_e32 v74, 0xbf06c442, v237
	s_delay_alu instid0(VALU_DEP_2) | instskip(SKIP_1) | instid1(VALU_DEP_3)
	v_add_f32_e32 v0, v4, v0
	v_sub_f32_e32 v238, v29, v31
	v_fma_f32 v4, 0xbf59a7d5, v52, -v74
	s_delay_alu instid0(VALU_DEP_1) | instskip(NEXT) | instid1(VALU_DEP_1)
	v_dual_mul_f32 v72, 0xbe3c28d5, v238 :: v_dual_add_f32 v3, v4, v3
	v_fmamk_f32 v4, v50, 0xbf7ba420, v72
	s_delay_alu instid0(VALU_DEP_1)
	v_add_f32_e32 v173, v4, v0
	v_sub_f32_e32 v0, v28, v30
	v_mul_f32_e32 v85, 0x3eb8f4ab, v238
	v_mul_f32_e32 v121, 0xbf06c442, v238
	;; [unrolled: 1-line block ×7, first 2 shown]
	v_dual_mul_f32 v111, 0x3f65296c, v0 :: v_dual_mul_f32 v108, 0x3f65296c, v238
	s_delay_alu instid0(VALU_DEP_4) | instskip(SKIP_1) | instid1(VALU_DEP_4)
	v_fma_f32 v4, 0xbf7ba420, v55, -v84
	v_mul_f32_e32 v197, 0xbf4c4adb, v0
	v_fma_f32 v23, 0x3f3d2fb0, v55, -v94
	v_mul_f32_e32 v208, 0xbf763a35, v238
	v_fma_f32 v79, 0x3ee437d1, v55, -v111
	v_dual_add_f32 v174, v4, v3 :: v_dual_fmamk_f32 v3, v119, 0x3f3d2fb0, v186
	v_fmamk_f32 v4, v44, 0x3dbcf732, v73
	v_mul_f32_e32 v217, 0xbf763a35, v0
	s_delay_alu instid0(VALU_DEP_3) | instskip(NEXT) | instid1(VALU_DEP_1)
	v_dual_mul_f32 v238, 0x3f7ee86f, v238 :: v_dual_add_f32 v3, v3, v8
	v_add_f32_e32 v3, v4, v3
	v_fma_f32 v4, 0x3f3d2fb0, v130, -v187
	s_delay_alu instid0(VALU_DEP_1) | instskip(NEXT) | instid1(VALU_DEP_1)
	v_add_f32_e32 v4, v4, v9
	v_add_f32_e32 v4, v5, v4
	v_fmamk_f32 v5, v45, 0xbf1a4643, v75
	s_delay_alu instid0(VALU_DEP_1) | instskip(SKIP_1) | instid1(VALU_DEP_1)
	v_add_f32_e32 v3, v5, v3
	v_fma_f32 v5, 0xbf1a4643, v53, -v88
	v_dual_add_f32 v4, v5, v4 :: v_dual_fmamk_f32 v5, v46, 0xbf7ba420, v80
	s_delay_alu instid0(VALU_DEP_1) | instskip(SKIP_1) | instid1(VALU_DEP_1)
	v_add_f32_e32 v3, v5, v3
	v_fma_f32 v5, 0xbf7ba420, v56, -v89
	v_dual_add_f32 v4, v5, v4 :: v_dual_fmamk_f32 v5, v47, 0xbf59a7d5, v81
	;; [unrolled: 4-line block ×3, first 2 shown]
	s_delay_alu instid0(VALU_DEP_1) | instskip(SKIP_1) | instid1(VALU_DEP_1)
	v_add_f32_e32 v3, v5, v3
	v_fma_f32 v5, 0xbe8c1d8e, v54, -v91
	v_add_f32_e32 v4, v5, v4
	v_fmamk_f32 v5, v49, 0x3ee437d1, v83
	s_delay_alu instid0(VALU_DEP_1) | instskip(SKIP_1) | instid1(VALU_DEP_1)
	v_add_f32_e32 v3, v5, v3
	v_fma_f32 v5, 0x3ee437d1, v52, -v92
	v_dual_add_f32 v4, v5, v4 :: v_dual_fmamk_f32 v5, v50, 0x3f6eb680, v85
	s_delay_alu instid0(VALU_DEP_1) | instskip(SKIP_1) | instid1(VALU_DEP_2)
	v_dual_add_f32 v6, v5, v3 :: v_dual_fmamk_f32 v3, v119, 0x3ee437d1, v188
	v_fma_f32 v5, 0xbf1a4643, v51, -v176
	v_add_f32_e32 v3, v3, v8
	v_mul_f32_e32 v86, 0x3eb8f4ab, v0
	s_delay_alu instid0(VALU_DEP_1) | instskip(NEXT) | instid1(VALU_DEP_1)
	v_fma_f32 v7, 0x3f6eb680, v55, -v86
	v_dual_add_f32 v7, v7, v4 :: v_dual_fmamk_f32 v4, v44, 0xbf1a4643, v132
	s_delay_alu instid0(VALU_DEP_1) | instskip(NEXT) | instid1(VALU_DEP_1)
	v_dual_add_f32 v3, v4, v3 :: v_dual_fmamk_f32 v4, v45, 0xbf7ba420, v131
	v_dual_add_f32 v3, v4, v3 :: v_dual_mul_f32 v128, 0x3f763a35, v230
	v_mul_f32_e32 v230, 0x3f2c7751, v230
	s_delay_alu instid0(VALU_DEP_2) | instskip(NEXT) | instid1(VALU_DEP_1)
	v_fmamk_f32 v4, v46, 0xbe8c1d8e, v128
	v_dual_add_f32 v3, v4, v3 :: v_dual_fmamk_f32 v4, v47, 0x3f3d2fb0, v127
	s_delay_alu instid0(VALU_DEP_1) | instskip(SKIP_1) | instid1(VALU_DEP_1)
	v_add_f32_e32 v3, v4, v3
	v_fmamk_f32 v4, v48, 0x3f6eb680, v126
	v_dual_add_f32 v3, v4, v3 :: v_dual_fmamk_f32 v4, v49, 0x3dbcf732, v124
	s_delay_alu instid0(VALU_DEP_1) | instskip(NEXT) | instid1(VALU_DEP_1)
	v_dual_add_f32 v3, v4, v3 :: v_dual_fmamk_f32 v4, v50, 0xbf59a7d5, v121
	v_add_f32_e32 v4, v4, v3
	v_fma_f32 v3, 0x3ee437d1, v130, -v196
	s_delay_alu instid0(VALU_DEP_1) | instskip(NEXT) | instid1(VALU_DEP_1)
	v_add_f32_e32 v3, v3, v9
	v_add_f32_e32 v3, v5, v3
	v_fma_f32 v5, 0xbf7ba420, v53, -v183
	s_delay_alu instid0(VALU_DEP_1) | instskip(SKIP_1) | instid1(VALU_DEP_1)
	v_add_f32_e32 v3, v5, v3
	v_fma_f32 v5, 0xbe8c1d8e, v56, -v185
	v_add_f32_e32 v3, v5, v3
	v_fma_f32 v5, 0x3f3d2fb0, v57, -v175
	s_delay_alu instid0(VALU_DEP_1) | instskip(SKIP_1) | instid1(VALU_DEP_1)
	v_add_f32_e32 v3, v5, v3
	v_fma_f32 v5, 0x3f6eb680, v54, -v135
	v_dual_add_f32 v3, v5, v3 :: v_dual_mul_f32 v134, 0xbf7ee86f, v237
	v_mul_f32_e32 v237, 0xbf763a35, v237
	s_delay_alu instid0(VALU_DEP_2) | instskip(NEXT) | instid1(VALU_DEP_1)
	v_fma_f32 v5, 0x3dbcf732, v52, -v134
	v_add_f32_e32 v3, v5, v3
	v_fma_f32 v5, 0xbf59a7d5, v55, -v133
	s_delay_alu instid0(VALU_DEP_1) | instskip(SKIP_1) | instid1(VALU_DEP_1)
	v_add_f32_e32 v5, v5, v3
	v_fmamk_f32 v3, v119, 0x3dbcf732, v201
	v_add_f32_e32 v3, v3, v8
	s_delay_alu instid0(VALU_DEP_1) | instskip(SKIP_1) | instid1(VALU_DEP_1)
	v_add_f32_e32 v3, v20, v3
	v_fma_f32 v20, 0x3dbcf732, v130, -v205
	v_add_f32_e32 v20, v20, v9
	s_delay_alu instid0(VALU_DEP_1) | instskip(SKIP_1) | instid1(VALU_DEP_1)
	v_add_f32_e32 v20, v21, v20
	v_fmamk_f32 v21, v45, 0xbe8c1d8e, v98
	v_add_f32_e32 v3, v21, v3
	v_fma_f32 v21, 0xbe8c1d8e, v53, -v102
	s_delay_alu instid0(VALU_DEP_1) | instskip(NEXT) | instid1(VALU_DEP_1)
	v_dual_add_f32 v20, v21, v20 :: v_dual_fmamk_f32 v21, v46, 0x3f6eb680, v99
	v_add_f32_e32 v3, v21, v3
	v_fma_f32 v21, 0x3f6eb680, v56, -v104
	s_delay_alu instid0(VALU_DEP_1) | instskip(NEXT) | instid1(VALU_DEP_1)
	v_dual_add_f32 v20, v21, v20 :: v_dual_fmamk_f32 v21, v47, 0x3ee437d1, v100
	;; [unrolled: 4-line block ×3, first 2 shown]
	v_add_f32_e32 v3, v21, v3
	v_fma_f32 v21, 0xbf59a7d5, v54, -v107
	s_delay_alu instid0(VALU_DEP_1) | instskip(SKIP_1) | instid1(VALU_DEP_1)
	v_add_f32_e32 v20, v21, v20
	v_fmamk_f32 v21, v49, 0xbf1a4643, v95
	v_add_f32_e32 v3, v21, v3
	v_fma_f32 v21, 0xbf1a4643, v52, -v103
	s_delay_alu instid0(VALU_DEP_1) | instskip(NEXT) | instid1(VALU_DEP_1)
	v_dual_add_f32 v20, v21, v20 :: v_dual_fmamk_f32 v21, v50, 0x3f3d2fb0, v93
	v_dual_add_f32 v23, v23, v20 :: v_dual_add_f32 v22, v21, v3
	v_fmamk_f32 v3, v119, 0xbe8c1d8e, v206
	v_fmamk_f32 v20, v44, 0xbf59a7d5, v195
	v_fma_f32 v21, 0xbf59a7d5, v51, -v202
	s_delay_alu instid0(VALU_DEP_3) | instskip(NEXT) | instid1(VALU_DEP_1)
	v_add_f32_e32 v3, v3, v8
	v_dual_add_f32 v3, v20, v3 :: v_dual_fmamk_f32 v20, v45, 0x3f3d2fb0, v194
	s_delay_alu instid0(VALU_DEP_1) | instskip(NEXT) | instid1(VALU_DEP_1)
	v_dual_add_f32 v3, v20, v3 :: v_dual_fmamk_f32 v20, v46, 0x3ee437d1, v193
	v_dual_add_f32 v3, v20, v3 :: v_dual_fmamk_f32 v20, v47, 0xbf7ba420, v192
	s_delay_alu instid0(VALU_DEP_1) | instskip(SKIP_1) | instid1(VALU_DEP_1)
	v_add_f32_e32 v3, v20, v3
	v_fmamk_f32 v20, v48, 0x3dbcf732, v191
	v_dual_add_f32 v3, v20, v3 :: v_dual_fmamk_f32 v20, v49, 0x3f6eb680, v190
	s_delay_alu instid0(VALU_DEP_1) | instskip(NEXT) | instid1(VALU_DEP_1)
	v_dual_add_f32 v3, v20, v3 :: v_dual_fmamk_f32 v20, v50, 0xbf1a4643, v189
	v_add_f32_e32 v20, v20, v3
	v_fma_f32 v3, 0xbe8c1d8e, v130, -v207
	s_delay_alu instid0(VALU_DEP_1) | instskip(NEXT) | instid1(VALU_DEP_1)
	v_add_f32_e32 v3, v3, v9
	v_add_f32_e32 v3, v21, v3
	v_fma_f32 v21, 0x3f3d2fb0, v53, -v203
	s_delay_alu instid0(VALU_DEP_1) | instskip(SKIP_1) | instid1(VALU_DEP_1)
	v_add_f32_e32 v3, v21, v3
	v_fma_f32 v21, 0x3ee437d1, v56, -v204
	v_add_f32_e32 v3, v21, v3
	v_fma_f32 v21, 0xbf7ba420, v57, -v200
	s_delay_alu instid0(VALU_DEP_1) | instskip(SKIP_1) | instid1(VALU_DEP_1)
	v_add_f32_e32 v3, v21, v3
	v_fma_f32 v21, 0x3dbcf732, v54, -v199
	;; [unrolled: 5-line block ×3, first 2 shown]
	v_add_f32_e32 v21, v21, v3
	v_fmamk_f32 v3, v119, 0xbf1a4643, v215
	s_delay_alu instid0(VALU_DEP_1) | instskip(NEXT) | instid1(VALU_DEP_1)
	v_add_f32_e32 v3, v3, v8
	v_add_f32_e32 v3, v76, v3
	v_fma_f32 v76, 0xbf1a4643, v130, -v216
	s_delay_alu instid0(VALU_DEP_1) | instskip(NEXT) | instid1(VALU_DEP_1)
	v_add_f32_e32 v76, v76, v9
	v_add_f32_e32 v76, v77, v76
	v_fmamk_f32 v77, v45, 0x3f6eb680, v115
	s_delay_alu instid0(VALU_DEP_1) | instskip(SKIP_1) | instid1(VALU_DEP_1)
	v_add_f32_e32 v3, v77, v3
	v_fma_f32 v77, 0x3f6eb680, v53, -v123
	v_dual_add_f32 v76, v77, v76 :: v_dual_fmamk_f32 v77, v46, 0xbf59a7d5, v113
	s_delay_alu instid0(VALU_DEP_1) | instskip(SKIP_1) | instid1(VALU_DEP_1)
	v_add_f32_e32 v3, v77, v3
	v_fma_f32 v77, 0xbf59a7d5, v56, -v125
	v_dual_add_f32 v76, v77, v76 :: v_dual_fmamk_f32 v77, v47, 0x3dbcf732, v114
	s_delay_alu instid0(VALU_DEP_1) | instskip(SKIP_1) | instid1(VALU_DEP_1)
	v_add_f32_e32 v3, v77, v3
	v_fma_f32 v77, 0x3dbcf732, v57, -v120
	v_dual_add_f32 v76, v77, v76 :: v_dual_fmamk_f32 v77, v48, 0x3f3d2fb0, v109
	s_delay_alu instid0(VALU_DEP_1) | instskip(SKIP_1) | instid1(VALU_DEP_1)
	v_add_f32_e32 v3, v77, v3
	v_fma_f32 v77, 0x3f3d2fb0, v54, -v117
	v_add_f32_e32 v76, v77, v76
	v_fmamk_f32 v77, v49, 0xbf7ba420, v110
	s_delay_alu instid0(VALU_DEP_1) | instskip(SKIP_1) | instid1(VALU_DEP_1)
	v_add_f32_e32 v3, v77, v3
	v_fma_f32 v77, 0xbf7ba420, v52, -v116
	v_dual_add_f32 v76, v77, v76 :: v_dual_fmamk_f32 v77, v50, 0x3ee437d1, v108
	s_delay_alu instid0(VALU_DEP_1) | instskip(SKIP_3) | instid1(VALU_DEP_3)
	v_dual_add_f32 v79, v79, v76 :: v_dual_add_f32 v78, v77, v3
	v_fmamk_f32 v3, v119, 0xbf59a7d5, v224
	v_fmamk_f32 v76, v44, 0x3ee437d1, v214
	v_fma_f32 v77, 0x3ee437d1, v51, -v220
	v_add_f32_e32 v3, v3, v8
	s_delay_alu instid0(VALU_DEP_1) | instskip(NEXT) | instid1(VALU_DEP_1)
	v_dual_add_f32 v3, v76, v3 :: v_dual_fmamk_f32 v76, v45, 0x3dbcf732, v213
	v_dual_add_f32 v3, v76, v3 :: v_dual_fmamk_f32 v76, v46, 0xbf1a4643, v212
	s_delay_alu instid0(VALU_DEP_1) | instskip(NEXT) | instid1(VALU_DEP_1)
	v_dual_add_f32 v3, v76, v3 :: v_dual_fmamk_f32 v76, v47, 0x3f6eb680, v211
	v_add_f32_e32 v3, v76, v3
	v_fmamk_f32 v76, v48, 0xbf7ba420, v210
	s_delay_alu instid0(VALU_DEP_1) | instskip(NEXT) | instid1(VALU_DEP_1)
	v_dual_add_f32 v3, v76, v3 :: v_dual_fmamk_f32 v76, v49, 0x3f3d2fb0, v209
	v_dual_add_f32 v3, v76, v3 :: v_dual_fmamk_f32 v76, v50, 0xbe8c1d8e, v208
	s_delay_alu instid0(VALU_DEP_1) | instskip(SKIP_1) | instid1(VALU_DEP_1)
	v_add_f32_e32 v76, v76, v3
	v_fma_f32 v3, 0xbf59a7d5, v130, -v225
	v_add_f32_e32 v3, v3, v9
	s_delay_alu instid0(VALU_DEP_1) | instskip(SKIP_1) | instid1(VALU_DEP_1)
	v_add_f32_e32 v3, v77, v3
	v_fma_f32 v77, 0x3dbcf732, v53, -v221
	v_add_f32_e32 v3, v77, v3
	v_fma_f32 v77, 0xbf1a4643, v56, -v222
	s_delay_alu instid0(VALU_DEP_1) | instskip(SKIP_1) | instid1(VALU_DEP_1)
	v_add_f32_e32 v3, v77, v3
	v_fma_f32 v77, 0x3f6eb680, v57, -v223
	v_add_f32_e32 v3, v77, v3
	v_fma_f32 v77, 0xbf7ba420, v54, -v219
	;; [unrolled: 5-line block ×3, first 2 shown]
	s_delay_alu instid0(VALU_DEP_1) | instskip(SKIP_2) | instid1(VALU_DEP_2)
	v_add_f32_e32 v77, v77, v3
	v_mul_f32_e32 v3, 0xbe3c28d5, v58
	v_mul_f32_e32 v58, 0x3eb8f4ab, v1
	v_fma_f32 v1, 0xbf7ba420, v119, -v3
	s_delay_alu instid0(VALU_DEP_2) | instskip(SKIP_2) | instid1(VALU_DEP_4)
	v_fma_f32 v239, 0x3f6eb680, v44, -v58
	v_fmac_f32_e32 v3, 0xbf7ba420, v119
	v_fmac_f32_e32 v58, 0x3f6eb680, v44
	v_add_f32_e32 v1, v1, v8
	s_delay_alu instid0(VALU_DEP_1) | instskip(SKIP_1) | instid1(VALU_DEP_1)
	v_add_f32_e32 v1, v239, v1
	v_mul_f32_e32 v239, 0xbe3c28d5, v2
	v_fmamk_f32 v2, v130, 0xbf7ba420, v239
	s_delay_alu instid0(VALU_DEP_1) | instskip(NEXT) | instid1(VALU_DEP_1)
	v_add_f32_e32 v2, v2, v9
	v_add_f32_e32 v2, v240, v2
	v_fma_f32 v240, 0xbf59a7d5, v45, -v228
	v_fmac_f32_e32 v228, 0xbf59a7d5, v45
	s_delay_alu instid0(VALU_DEP_2) | instskip(NEXT) | instid1(VALU_DEP_1)
	v_dual_add_f32 v1, v240, v1 :: v_dual_fmamk_f32 v240, v53, 0xbf59a7d5, v229
	v_add_f32_e32 v2, v240, v2
	v_fma_f32 v240, 0x3f3d2fb0, v46, -v230
	s_delay_alu instid0(VALU_DEP_1) | instskip(SKIP_1) | instid1(VALU_DEP_1)
	v_dual_fmac_f32 v230, 0x3f3d2fb0, v46 :: v_dual_add_f32 v1, v240, v1
	v_fmamk_f32 v240, v56, 0x3f3d2fb0, v231
	v_add_f32_e32 v2, v240, v2
	v_fma_f32 v240, 0xbf1a4643, v47, -v232
	s_delay_alu instid0(VALU_DEP_1) | instskip(SKIP_1) | instid1(VALU_DEP_1)
	v_dual_fmac_f32 v232, 0xbf1a4643, v47 :: v_dual_add_f32 v1, v240, v1
	v_fmamk_f32 v240, v57, 0xbf1a4643, v233
	;; [unrolled: 5-line block ×3, first 2 shown]
	v_add_f32_e32 v2, v240, v2
	v_fma_f32 v240, 0xbe8c1d8e, v49, -v236
	v_fmac_f32_e32 v236, 0xbe8c1d8e, v49
	s_delay_alu instid0(VALU_DEP_2) | instskip(SKIP_1) | instid1(VALU_DEP_1)
	v_add_f32_e32 v1, v240, v1
	v_fmamk_f32 v240, v52, 0xbe8c1d8e, v237
	v_add_f32_e32 v2, v240, v2
	v_mul_f32_e32 v240, 0x3f7ee86f, v0
	v_fma_f32 v0, 0x3dbcf732, v50, -v238
	v_fmac_f32_e32 v238, 0x3dbcf732, v50
	s_delay_alu instid0(VALU_DEP_2) | instskip(NEXT) | instid1(VALU_DEP_1)
	v_dual_fmamk_f32 v241, v55, 0x3dbcf732, v240 :: v_dual_add_f32 v0, v0, v1
	v_dual_add_f32 v1, v241, v2 :: v_dual_add_f32 v2, v3, v8
	v_fma_f32 v3, 0xbf7ba420, v130, -v239
	s_delay_alu instid0(VALU_DEP_1) | instskip(SKIP_1) | instid1(VALU_DEP_1)
	v_dual_add_f32 v2, v58, v2 :: v_dual_add_f32 v3, v3, v9
	v_fma_f32 v58, 0x3f6eb680, v51, -v182
	v_dual_add_f32 v2, v228, v2 :: v_dual_add_f32 v3, v58, v3
	v_fma_f32 v58, 0xbf59a7d5, v53, -v229
	s_delay_alu instid0(VALU_DEP_2) | instskip(NEXT) | instid1(VALU_DEP_2)
	v_add_f32_e32 v2, v230, v2
	v_add_f32_e32 v3, v58, v3
	v_fma_f32 v58, 0x3f3d2fb0, v56, -v231
	s_delay_alu instid0(VALU_DEP_1) | instskip(SKIP_1) | instid1(VALU_DEP_2)
	v_dual_add_f32 v2, v232, v2 :: v_dual_add_f32 v3, v58, v3
	v_fma_f32 v58, 0xbf1a4643, v57, -v233
	v_add_f32_e32 v2, v234, v2
	s_delay_alu instid0(VALU_DEP_2) | instskip(SKIP_1) | instid1(VALU_DEP_1)
	v_add_f32_e32 v3, v58, v3
	v_fma_f32 v58, 0x3ee437d1, v54, -v235
	v_dual_add_f32 v2, v236, v2 :: v_dual_add_f32 v3, v58, v3
	v_fma_f32 v58, 0xbe8c1d8e, v52, -v237
	s_delay_alu instid0(VALU_DEP_2) | instskip(NEXT) | instid1(VALU_DEP_2)
	v_add_f32_e32 v2, v238, v2
	v_add_f32_e32 v3, v58, v3
	v_fma_f32 v58, 0x3dbcf732, v55, -v240
	s_delay_alu instid0(VALU_DEP_1) | instskip(SKIP_1) | instid1(VALU_DEP_1)
	v_add_f32_e32 v3, v58, v3
	v_add_co_u32 v58, null, v150, 17
	v_mul_u32_u24_e32 v177, 17, v58
	s_and_saveexec_b32 s2, vcc_lo
	s_cbranch_execz .LBB0_7
; %bb.6:
	v_dual_add_f32 v11, v11, v9 :: v_dual_add_f32 v10, v10, v8
	s_delay_alu instid0(VALU_DEP_1) | instskip(NEXT) | instid1(VALU_DEP_1)
	v_dual_add_f32 v11, v41, v11 :: v_dual_add_f32 v10, v40, v10
	v_dual_add_f32 v11, v43, v11 :: v_dual_add_f32 v10, v42, v10
	s_delay_alu instid0(VALU_DEP_1) | instskip(NEXT) | instid1(VALU_DEP_1)
	v_dual_add_f32 v11, v37, v11 :: v_dual_add_f32 v10, v36, v10
	;; [unrolled: 3-line block ×3, first 2 shown]
	v_dual_add_f32 v11, v35, v11 :: v_dual_add_f32 v10, v34, v10
	s_delay_alu instid0(VALU_DEP_1) | instskip(SKIP_1) | instid1(VALU_DEP_2)
	v_dual_add_f32 v11, v29, v11 :: v_dual_add_f32 v10, v28, v10
	v_mul_f32_e32 v29, 0x3f6eb680, v119
	v_dual_add_f32 v11, v31, v11 :: v_dual_add_f32 v10, v30, v10
	s_delay_alu instid0(VALU_DEP_1) | instskip(SKIP_1) | instid1(VALU_DEP_2)
	v_dual_add_f32 v11, v13, v11 :: v_dual_add_f32 v10, v12, v10
	v_dual_mul_f32 v12, 0xbf59a7d5, v130 :: v_dual_mul_f32 v13, 0xbf59a7d5, v119
	v_dual_add_f32 v11, v15, v11 :: v_dual_add_f32 v10, v14, v10
	s_delay_alu instid0(VALU_DEP_2) | instskip(NEXT) | instid1(VALU_DEP_3)
	v_dual_add_f32 v12, v225, v12 :: v_dual_mul_f32 v15, 0xbf1a4643, v119
	v_dual_sub_f32 v13, v13, v224 :: v_dual_mul_f32 v14, 0xbf1a4643, v130
	s_delay_alu instid0(VALU_DEP_3) | instskip(SKIP_1) | instid1(VALU_DEP_3)
	v_dual_add_f32 v11, v17, v11 :: v_dual_add_f32 v10, v16, v10
	v_dual_mul_f32 v16, 0xbe8c1d8e, v130 :: v_dual_mul_f32 v17, 0xbe8c1d8e, v119
	v_dual_mul_f32 v28, 0x3f6eb680, v130 :: v_dual_add_f32 v13, v13, v8
	s_delay_alu instid0(VALU_DEP_3) | instskip(SKIP_2) | instid1(VALU_DEP_3)
	v_dual_add_f32 v11, v19, v11 :: v_dual_add_f32 v10, v18, v10
	v_dual_mul_f32 v18, 0x3dbcf732, v130 :: v_dual_mul_f32 v19, 0x3dbcf732, v119
	v_dual_add_f32 v14, v216, v14 :: v_dual_sub_f32 v15, v15, v215
	v_dual_add_f32 v11, v25, v11 :: v_dual_add_f32 v10, v24, v10
	v_dual_mul_f32 v24, 0x3ee437d1, v130 :: v_dual_mul_f32 v25, 0x3ee437d1, v119
	v_dual_add_f32 v16, v207, v16 :: v_dual_sub_f32 v17, v17, v206
	s_delay_alu instid0(VALU_DEP_3) | instskip(NEXT) | instid1(VALU_DEP_3)
	v_dual_add_f32 v11, v27, v11 :: v_dual_add_f32 v10, v26, v10
	v_dual_sub_f32 v25, v25, v188 :: v_dual_mul_f32 v26, 0x3f3d2fb0, v130
	s_delay_alu instid0(VALU_DEP_4) | instskip(SKIP_1) | instid1(VALU_DEP_3)
	v_dual_add_f32 v24, v196, v24 :: v_dual_mul_f32 v27, 0x3f3d2fb0, v119
	v_dual_add_f32 v18, v205, v18 :: v_dual_sub_f32 v19, v19, v201
	v_add_f32_e32 v26, v187, v26
	s_delay_alu instid0(VALU_DEP_3)
	v_dual_add_f32 v28, v129, v28 :: v_dual_sub_f32 v27, v27, v186
	v_dual_sub_f32 v29, v29, v118 :: v_dual_add_f32 v12, v12, v9
	v_dual_add_f32 v30, v14, v9 :: v_dual_add_f32 v31, v15, v8
	v_dual_add_f32 v14, v16, v9 :: v_dual_add_f32 v15, v17, v8
	;; [unrolled: 1-line block ×7, first 2 shown]
	v_mul_f32_e32 v10, 0x3ee437d1, v51
	v_mul_f32_e32 v11, 0x3dbcf732, v53
	;; [unrolled: 1-line block ×4, first 2 shown]
	s_delay_alu instid0(VALU_DEP_4) | instskip(NEXT) | instid1(VALU_DEP_3)
	v_dual_mul_f32 v29, 0x3f6eb680, v53 :: v_dual_add_f32 v10, v220, v10
	v_dual_add_f32 v11, v221, v11 :: v_dual_sub_f32 v28, v28, v96
	s_delay_alu instid0(VALU_DEP_3) | instskip(NEXT) | instid1(VALU_DEP_3)
	v_sub_f32_e32 v27, v27, v98
	v_dual_add_f32 v29, v123, v29 :: v_dual_add_f32 v10, v10, v12
	v_mul_f32_e32 v12, 0x3ee437d1, v44
	s_delay_alu instid0(VALU_DEP_2) | instskip(NEXT) | instid1(VALU_DEP_1)
	v_dual_add_f32 v10, v11, v10 :: v_dual_mul_f32 v11, 0xbf1a4643, v56
	v_dual_sub_f32 v12, v12, v214 :: v_dual_add_f32 v11, v222, v11
	s_delay_alu instid0(VALU_DEP_1) | instskip(NEXT) | instid1(VALU_DEP_1)
	v_dual_add_f32 v10, v11, v10 :: v_dual_mul_f32 v11, 0x3f6eb680, v57
	v_add_f32_e32 v11, v223, v11
	s_delay_alu instid0(VALU_DEP_1) | instskip(SKIP_1) | instid1(VALU_DEP_1)
	v_dual_add_f32 v10, v11, v10 :: v_dual_add_f32 v11, v12, v13
	v_mul_f32_e32 v12, 0x3dbcf732, v45
	v_dual_mul_f32 v13, 0xbf7ba420, v54 :: v_dual_sub_f32 v12, v12, v213
	s_delay_alu instid0(VALU_DEP_1) | instskip(NEXT) | instid1(VALU_DEP_2)
	v_add_f32_e32 v13, v219, v13
	v_dual_add_f32 v11, v12, v11 :: v_dual_mul_f32 v12, 0xbf1a4643, v46
	s_delay_alu instid0(VALU_DEP_2) | instskip(NEXT) | instid1(VALU_DEP_1)
	v_dual_add_f32 v10, v13, v10 :: v_dual_mul_f32 v13, 0x3f3d2fb0, v52
	v_dual_sub_f32 v12, v12, v212 :: v_dual_add_f32 v13, v218, v13
	s_delay_alu instid0(VALU_DEP_1) | instskip(SKIP_1) | instid1(VALU_DEP_1)
	v_dual_add_f32 v11, v12, v11 :: v_dual_add_f32 v10, v13, v10
	v_mul_f32_e32 v13, 0xbe8c1d8e, v55
	v_dual_mul_f32 v12, 0x3f6eb680, v47 :: v_dual_add_f32 v13, v217, v13
	s_delay_alu instid0(VALU_DEP_1) | instskip(NEXT) | instid1(VALU_DEP_1)
	v_sub_f32_e32 v12, v12, v211
	v_dual_add_f32 v11, v12, v11 :: v_dual_mul_f32 v12, 0xbf7ba420, v48
	s_delay_alu instid0(VALU_DEP_1) | instskip(NEXT) | instid1(VALU_DEP_1)
	v_sub_f32_e32 v12, v12, v210
	v_dual_add_f32 v11, v12, v11 :: v_dual_mul_f32 v12, 0x3f3d2fb0, v49
	;; [unrolled: 3-line block ×3, first 2 shown]
	s_delay_alu instid0(VALU_DEP_1) | instskip(NEXT) | instid1(VALU_DEP_1)
	v_dual_sub_f32 v26, v11, v208 :: v_dual_add_f32 v11, v13, v10
	v_dual_mul_f32 v13, 0x3f3d2fb0, v53 :: v_dual_add_f32 v10, v26, v12
	s_delay_alu instid0(VALU_DEP_1) | instskip(NEXT) | instid1(VALU_DEP_1)
	v_dual_mul_f32 v12, 0xbf59a7d5, v51 :: v_dual_add_f32 v13, v203, v13
	v_add_f32_e32 v12, v202, v12
	s_delay_alu instid0(VALU_DEP_1) | instskip(SKIP_1) | instid1(VALU_DEP_1)
	v_add_f32_e32 v12, v12, v14
	v_mul_f32_e32 v14, 0xbf59a7d5, v44
	v_sub_f32_e32 v14, v14, v195
	s_delay_alu instid0(VALU_DEP_1) | instskip(NEXT) | instid1(VALU_DEP_4)
	v_dual_add_f32 v14, v14, v15 :: v_dual_mul_f32 v15, 0x3f3d2fb0, v45
	v_add_f32_e32 v12, v13, v12
	v_mul_f32_e32 v13, 0x3ee437d1, v56
	s_delay_alu instid0(VALU_DEP_3) | instskip(NEXT) | instid1(VALU_DEP_1)
	v_sub_f32_e32 v15, v15, v194
	v_dual_add_f32 v13, v204, v13 :: v_dual_add_f32 v14, v15, v14
	s_delay_alu instid0(VALU_DEP_1) | instskip(SKIP_1) | instid1(VALU_DEP_2)
	v_dual_mul_f32 v15, 0x3ee437d1, v46 :: v_dual_add_f32 v12, v13, v12
	v_mul_f32_e32 v13, 0xbf7ba420, v57
	v_sub_f32_e32 v15, v15, v193
	s_delay_alu instid0(VALU_DEP_2) | instskip(NEXT) | instid1(VALU_DEP_1)
	v_add_f32_e32 v13, v200, v13
	v_dual_add_f32 v12, v13, v12 :: v_dual_mul_f32 v13, 0x3dbcf732, v54
	s_delay_alu instid0(VALU_DEP_1) | instskip(NEXT) | instid1(VALU_DEP_1)
	v_add_f32_e32 v13, v199, v13
	v_dual_add_f32 v12, v13, v12 :: v_dual_add_f32 v13, v15, v14
	v_mul_f32_e32 v15, 0x3f6eb680, v52
	s_delay_alu instid0(VALU_DEP_1) | instskip(NEXT) | instid1(VALU_DEP_1)
	v_add_f32_e32 v15, v198, v15
	v_dual_add_f32 v12, v15, v12 :: v_dual_mul_f32 v15, 0xbf1a4643, v55
	s_delay_alu instid0(VALU_DEP_1) | instskip(SKIP_1) | instid1(VALU_DEP_1)
	v_add_f32_e32 v15, v197, v15
	v_mul_f32_e32 v14, 0xbf7ba420, v47
	v_sub_f32_e32 v14, v14, v192
	s_delay_alu instid0(VALU_DEP_1) | instskip(NEXT) | instid1(VALU_DEP_1)
	v_dual_add_f32 v13, v14, v13 :: v_dual_mul_f32 v14, 0x3dbcf732, v48
	v_sub_f32_e32 v14, v14, v191
	s_delay_alu instid0(VALU_DEP_1) | instskip(SKIP_1) | instid1(VALU_DEP_1)
	v_add_f32_e32 v13, v14, v13
	v_mul_f32_e32 v14, 0x3f6eb680, v49
	v_sub_f32_e32 v14, v14, v190
	s_delay_alu instid0(VALU_DEP_1) | instskip(NEXT) | instid1(VALU_DEP_1)
	v_dual_add_f32 v14, v14, v13 :: v_dual_mul_f32 v13, 0xbf1a4643, v50
	v_dual_sub_f32 v26, v13, v189 :: v_dual_add_f32 v13, v15, v12
	s_delay_alu instid0(VALU_DEP_1) | instskip(SKIP_1) | instid1(VALU_DEP_1)
	v_dual_mul_f32 v15, 0xbf7ba420, v53 :: v_dual_add_f32 v12, v26, v14
	v_mul_f32_e32 v14, 0xbf1a4643, v51
	v_dual_add_f32 v15, v183, v15 :: v_dual_add_f32 v14, v176, v14
	s_delay_alu instid0(VALU_DEP_1) | instskip(SKIP_1) | instid1(VALU_DEP_2)
	v_add_f32_e32 v14, v14, v16
	v_mul_f32_e32 v16, 0xbf1a4643, v44
	v_add_f32_e32 v14, v15, v14
	s_delay_alu instid0(VALU_DEP_2) | instskip(NEXT) | instid1(VALU_DEP_1)
	v_sub_f32_e32 v16, v16, v132
	v_dual_mul_f32 v15, 0xbe8c1d8e, v56 :: v_dual_add_f32 v16, v16, v17
	v_mul_f32_e32 v17, 0xbf7ba420, v45
	s_delay_alu instid0(VALU_DEP_2) | instskip(NEXT) | instid1(VALU_DEP_2)
	v_add_f32_e32 v15, v185, v15
	v_sub_f32_e32 v17, v17, v131
	s_delay_alu instid0(VALU_DEP_1) | instskip(NEXT) | instid1(VALU_DEP_1)
	v_dual_add_f32 v16, v17, v16 :: v_dual_mul_f32 v17, 0xbe8c1d8e, v46
	v_dual_sub_f32 v17, v17, v128 :: v_dual_add_f32 v14, v15, v14
	v_mul_f32_e32 v15, 0x3f3d2fb0, v57
	s_delay_alu instid0(VALU_DEP_1) | instskip(NEXT) | instid1(VALU_DEP_1)
	v_add_f32_e32 v15, v175, v15
	v_add_f32_e32 v14, v15, v14
	v_mul_f32_e32 v15, 0x3f6eb680, v54
	s_delay_alu instid0(VALU_DEP_1) | instskip(NEXT) | instid1(VALU_DEP_1)
	v_add_f32_e32 v15, v135, v15
	v_dual_add_f32 v14, v15, v14 :: v_dual_add_f32 v15, v17, v16
	v_mul_f32_e32 v17, 0x3dbcf732, v52
	s_delay_alu instid0(VALU_DEP_1) | instskip(NEXT) | instid1(VALU_DEP_1)
	v_add_f32_e32 v17, v134, v17
	v_dual_add_f32 v14, v17, v14 :: v_dual_mul_f32 v17, 0xbf59a7d5, v55
	s_delay_alu instid0(VALU_DEP_1) | instskip(NEXT) | instid1(VALU_DEP_1)
	v_dual_mul_f32 v16, 0x3f3d2fb0, v47 :: v_dual_add_f32 v17, v133, v17
	v_sub_f32_e32 v16, v16, v127
	s_delay_alu instid0(VALU_DEP_1) | instskip(NEXT) | instid1(VALU_DEP_1)
	v_dual_add_f32 v15, v16, v15 :: v_dual_mul_f32 v16, 0x3f6eb680, v48
	v_sub_f32_e32 v16, v16, v126
	s_delay_alu instid0(VALU_DEP_1) | instskip(NEXT) | instid1(VALU_DEP_1)
	v_dual_add_f32 v15, v16, v15 :: v_dual_mul_f32 v16, 0x3dbcf732, v49
	;; [unrolled: 3-line block ×3, first 2 shown]
	v_dual_sub_f32 v26, v15, v121 :: v_dual_add_f32 v15, v17, v14
	v_mul_f32_e32 v17, 0x3f3d2fb0, v44
	s_delay_alu instid0(VALU_DEP_1) | instskip(NEXT) | instid1(VALU_DEP_1)
	v_sub_f32_e32 v17, v17, v59
	v_dual_add_f32 v17, v17, v25 :: v_dual_add_f32 v14, v26, v16
	v_mul_f32_e32 v25, 0x3ee437d1, v45
	s_delay_alu instid0(VALU_DEP_1) | instskip(NEXT) | instid1(VALU_DEP_1)
	v_dual_mul_f32 v16, 0x3f3d2fb0, v51 :: v_dual_sub_f32 v25, v25, v60
	v_add_f32_e32 v16, v61, v16
	s_delay_alu instid0(VALU_DEP_2) | instskip(NEXT) | instid1(VALU_DEP_2)
	v_add_f32_e32 v17, v25, v17
	v_dual_mul_f32 v25, 0x3dbcf732, v46 :: v_dual_add_f32 v16, v16, v24
	s_delay_alu instid0(VALU_DEP_1) | instskip(NEXT) | instid1(VALU_DEP_1)
	v_sub_f32_e32 v25, v25, v62
	v_add_f32_e32 v17, v25, v17
	v_mul_f32_e32 v25, 0xbe8c1d8e, v47
	s_delay_alu instid0(VALU_DEP_1) | instskip(NEXT) | instid1(VALU_DEP_1)
	v_dual_mul_f32 v24, 0x3ee437d1, v53 :: v_dual_sub_f32 v25, v25, v66
	v_dual_add_f32 v24, v63, v24 :: v_dual_add_f32 v17, v25, v17
	v_mul_f32_e32 v25, 0xbf1a4643, v48
	s_delay_alu instid0(VALU_DEP_1) | instskip(NEXT) | instid1(VALU_DEP_1)
	v_sub_f32_e32 v25, v25, v68
	v_dual_add_f32 v16, v24, v16 :: v_dual_add_f32 v17, v25, v17
	v_mul_f32_e32 v25, 0xbf59a7d5, v49
	s_delay_alu instid0(VALU_DEP_1) | instskip(NEXT) | instid1(VALU_DEP_1)
	v_dual_mul_f32 v24, 0x3dbcf732, v56 :: v_dual_sub_f32 v25, v25, v70
	v_dual_add_f32 v24, v67, v24 :: v_dual_add_f32 v25, v25, v17
	s_delay_alu instid0(VALU_DEP_1) | instskip(SKIP_1) | instid1(VALU_DEP_1)
	v_add_f32_e32 v16, v24, v16
	v_mul_f32_e32 v24, 0xbe8c1d8e, v57
	v_dual_mul_f32 v17, 0xbf7ba420, v50 :: v_dual_add_f32 v24, v69, v24
	s_delay_alu instid0(VALU_DEP_1) | instskip(NEXT) | instid1(VALU_DEP_2)
	v_sub_f32_e32 v26, v17, v72
	v_add_f32_e32 v16, v24, v16
	v_mul_f32_e32 v24, 0xbf1a4643, v54
	s_delay_alu instid0(VALU_DEP_1) | instskip(NEXT) | instid1(VALU_DEP_1)
	v_add_f32_e32 v24, v71, v24
	v_add_f32_e32 v16, v24, v16
	v_mul_f32_e32 v24, 0xbf59a7d5, v52
	s_delay_alu instid0(VALU_DEP_1) | instskip(NEXT) | instid1(VALU_DEP_1)
	v_add_f32_e32 v24, v74, v24
	;; [unrolled: 4-line block ×3, first 2 shown]
	v_dual_add_f32 v17, v24, v16 :: v_dual_add_f32 v16, v26, v25
	v_dual_mul_f32 v24, 0x3dbcf732, v51 :: v_dual_mul_f32 v25, 0x3dbcf732, v44
	s_delay_alu instid0(VALU_DEP_1) | instskip(NEXT) | instid1(VALU_DEP_1)
	v_sub_f32_e32 v25, v25, v73
	v_add_f32_e32 v19, v25, v19
	v_mul_f32_e32 v25, 0xbf1a4643, v45
	s_delay_alu instid0(VALU_DEP_1) | instskip(NEXT) | instid1(VALU_DEP_1)
	v_sub_f32_e32 v25, v25, v75
	v_add_f32_e32 v19, v25, v19
	v_mul_f32_e32 v25, 0xbf7ba420, v46
	s_delay_alu instid0(VALU_DEP_1) | instskip(NEXT) | instid1(VALU_DEP_1)
	v_sub_f32_e32 v25, v25, v80
	v_dual_add_f32 v24, v87, v24 :: v_dual_add_f32 v19, v25, v19
	s_delay_alu instid0(VALU_DEP_1) | instskip(NEXT) | instid1(VALU_DEP_1)
	v_dual_mul_f32 v25, 0xbf59a7d5, v47 :: v_dual_add_f32 v18, v24, v18
	v_sub_f32_e32 v25, v25, v81
	s_delay_alu instid0(VALU_DEP_1) | instskip(SKIP_1) | instid1(VALU_DEP_1)
	v_dual_mul_f32 v24, 0xbf1a4643, v53 :: v_dual_add_f32 v19, v25, v19
	v_mul_f32_e32 v25, 0xbe8c1d8e, v48
	v_dual_add_f32 v24, v88, v24 :: v_dual_sub_f32 v25, v25, v82
	s_delay_alu instid0(VALU_DEP_1) | instskip(SKIP_1) | instid1(VALU_DEP_1)
	v_dual_add_f32 v18, v24, v18 :: v_dual_add_f32 v19, v25, v19
	v_mul_f32_e32 v25, 0x3f6eb680, v55
	v_dual_mul_f32 v24, 0xbf7ba420, v56 :: v_dual_add_f32 v25, v86, v25
	s_delay_alu instid0(VALU_DEP_1) | instskip(NEXT) | instid1(VALU_DEP_1)
	v_add_f32_e32 v24, v89, v24
	v_add_f32_e32 v18, v24, v18
	v_mul_f32_e32 v24, 0xbf59a7d5, v57
	s_delay_alu instid0(VALU_DEP_1) | instskip(NEXT) | instid1(VALU_DEP_1)
	v_add_f32_e32 v24, v90, v24
	v_add_f32_e32 v18, v24, v18
	v_mul_f32_e32 v24, 0xbe8c1d8e, v54
	;; [unrolled: 4-line block ×4, first 2 shown]
	s_delay_alu instid0(VALU_DEP_1) | instskip(NEXT) | instid1(VALU_DEP_1)
	v_sub_f32_e32 v24, v24, v83
	v_dual_add_f32 v24, v24, v19 :: v_dual_mul_f32 v19, 0x3f6eb680, v50
	s_delay_alu instid0(VALU_DEP_1) | instskip(NEXT) | instid1(VALU_DEP_1)
	v_dual_sub_f32 v26, v19, v85 :: v_dual_add_f32 v19, v25, v18
	v_dual_mul_f32 v25, 0xbe8c1d8e, v53 :: v_dual_add_f32 v18, v26, v24
	s_delay_alu instid0(VALU_DEP_1) | instskip(NEXT) | instid1(VALU_DEP_1)
	v_dual_mul_f32 v26, 0xbf7ba420, v44 :: v_dual_add_f32 v25, v102, v25
	v_sub_f32_e32 v26, v26, v97
	s_delay_alu instid0(VALU_DEP_1) | instskip(NEXT) | instid1(VALU_DEP_1)
	v_dual_add_f32 v26, v26, v33 :: v_dual_mul_f32 v33, 0x3ee437d1, v50
	v_add_f32_e32 v26, v27, v26
	v_mul_f32_e32 v27, 0x3f6eb680, v46
	s_delay_alu instid0(VALU_DEP_3) | instskip(NEXT) | instid1(VALU_DEP_2)
	v_sub_f32_e32 v33, v33, v108
	v_sub_f32_e32 v27, v27, v99
	v_mul_f32_e32 v24, 0xbf7ba420, v51
	s_delay_alu instid0(VALU_DEP_1) | instskip(NEXT) | instid1(VALU_DEP_1)
	v_add_f32_e32 v24, v101, v24
	v_add_f32_e32 v24, v24, v32
	v_mul_f32_e32 v32, 0x3ee437d1, v55
	s_delay_alu instid0(VALU_DEP_2) | instskip(SKIP_1) | instid1(VALU_DEP_1)
	v_add_f32_e32 v24, v25, v24
	v_mul_f32_e32 v25, 0x3f6eb680, v56
	v_dual_add_f32 v32, v111, v32 :: v_dual_add_f32 v25, v104, v25
	s_delay_alu instid0(VALU_DEP_1) | instskip(NEXT) | instid1(VALU_DEP_1)
	v_dual_add_f32 v24, v25, v24 :: v_dual_mul_f32 v25, 0x3ee437d1, v57
	v_add_f32_e32 v25, v105, v25
	s_delay_alu instid0(VALU_DEP_1) | instskip(NEXT) | instid1(VALU_DEP_1)
	v_dual_add_f32 v24, v25, v24 :: v_dual_mul_f32 v25, 0xbf59a7d5, v54
	v_add_f32_e32 v25, v107, v25
	s_delay_alu instid0(VALU_DEP_1) | instskip(SKIP_2) | instid1(VALU_DEP_1)
	v_dual_add_f32 v24, v25, v24 :: v_dual_add_f32 v25, v27, v26
	v_mul_f32_e32 v26, 0x3ee437d1, v47
	v_mul_f32_e32 v27, 0xbf1a4643, v52
	v_dual_sub_f32 v26, v26, v100 :: v_dual_add_f32 v27, v103, v27
	s_delay_alu instid0(VALU_DEP_1) | instskip(NEXT) | instid1(VALU_DEP_1)
	v_dual_add_f32 v25, v26, v25 :: v_dual_mul_f32 v26, 0xbe8c1d8e, v51
	v_add_f32_e32 v26, v122, v26
	s_delay_alu instid0(VALU_DEP_1) | instskip(SKIP_1) | instid1(VALU_DEP_2)
	v_add_f32_e32 v26, v26, v30
	v_mul_f32_e32 v30, 0x3f6eb680, v45
	v_dual_add_f32 v26, v29, v26 :: v_dual_mul_f32 v29, 0x3dbcf732, v57
	v_add_f32_e32 v24, v27, v24
	s_delay_alu instid0(VALU_DEP_3) | instskip(NEXT) | instid1(VALU_DEP_3)
	v_dual_mul_f32 v27, 0xbf59a7d5, v56 :: v_dual_sub_f32 v30, v30, v115
	v_add_f32_e32 v29, v120, v29
	s_delay_alu instid0(VALU_DEP_2) | instskip(NEXT) | instid1(VALU_DEP_1)
	v_add_f32_e32 v27, v125, v27
	v_dual_add_f32 v26, v27, v26 :: v_dual_mul_f32 v27, 0xbe8c1d8e, v44
	s_delay_alu instid0(VALU_DEP_1) | instskip(NEXT) | instid1(VALU_DEP_1)
	v_sub_f32_e32 v27, v27, v112
	v_add_f32_e32 v27, v27, v31
	v_mul_f32_e32 v31, 0x3f3d2fb0, v55
	v_add_f32_e32 v25, v28, v25
	s_delay_alu instid0(VALU_DEP_2) | instskip(NEXT) | instid1(VALU_DEP_1)
	v_dual_mul_f32 v28, 0xbf1a4643, v49 :: v_dual_add_f32 v31, v94, v31
	v_sub_f32_e32 v28, v28, v95
	s_delay_alu instid0(VALU_DEP_1) | instskip(SKIP_1) | instid1(VALU_DEP_1)
	v_dual_add_f32 v28, v28, v25 :: v_dual_add_f32 v25, v29, v26
	v_mul_f32_e32 v29, 0x3f3d2fb0, v54
	v_dual_add_f32 v29, v117, v29 :: v_dual_add_f32 v26, v30, v27
	v_mul_f32_e32 v27, 0xbf59a7d5, v46
	s_delay_alu instid0(VALU_DEP_2) | instskip(SKIP_1) | instid1(VALU_DEP_3)
	v_add_f32_e32 v25, v29, v25
	v_mul_f32_e32 v29, 0xbf7ba420, v52
	v_sub_f32_e32 v27, v27, v113
	s_delay_alu instid0(VALU_DEP_1) | instskip(SKIP_1) | instid1(VALU_DEP_2)
	v_dual_add_f32 v29, v116, v29 :: v_dual_add_f32 v26, v27, v26
	v_mul_f32_e32 v27, 0x3dbcf732, v47
	v_add_f32_e32 v29, v29, v25
	s_delay_alu instid0(VALU_DEP_2) | instskip(NEXT) | instid1(VALU_DEP_1)
	v_sub_f32_e32 v27, v27, v114
	v_dual_add_f32 v26, v27, v26 :: v_dual_mul_f32 v27, 0x3f3d2fb0, v48
	s_delay_alu instid0(VALU_DEP_1) | instskip(NEXT) | instid1(VALU_DEP_1)
	v_dual_mul_f32 v30, 0x3f3d2fb0, v50 :: v_dual_sub_f32 v27, v27, v109
	v_dual_add_f32 v26, v27, v26 :: v_dual_mul_f32 v27, 0xbf7ba420, v49
	s_delay_alu instid0(VALU_DEP_1) | instskip(NEXT) | instid1(VALU_DEP_1)
	v_dual_sub_f32 v30, v30, v93 :: v_dual_sub_f32 v27, v27, v110
	v_add_f32_e32 v26, v27, v26
	v_add_f32_e32 v25, v31, v24
	v_lshl_add_u32 v31, v177, 3, v172
	s_delay_alu instid0(VALU_DEP_4) | instskip(NEXT) | instid1(VALU_DEP_4)
	v_dual_add_f32 v24, v30, v28 :: v_dual_add_f32 v27, v32, v29
	v_add_f32_e32 v26, v33, v26
	ds_store_2addr_b64 v31, v[8:9], v[16:17] offset1:1
	ds_store_2addr_b64 v31, v[18:19], v[14:15] offset0:2 offset1:3
	ds_store_2addr_b64 v31, v[24:25], v[12:13] offset0:4 offset1:5
	;; [unrolled: 1-line block ×7, first 2 shown]
	ds_store_b64 v31, v[173:174] offset:128
.LBB0_7:
	s_wait_alu 0xfffe
	s_or_b32 exec_lo, exec_lo, s2
	v_lshlrev_b32_e32 v60, 5, v150
	v_add_co_u32 v59, null, v150, 34
	global_wb scope:SCOPE_SE
	s_wait_dscnt 0x0
	s_barrier_signal -1
	s_barrier_wait -1
	global_inv scope:SCOPE_SE
	s_clause 0x1
	global_load_b128 v[12:15], v60, s[0:1]
	global_load_b128 v[8:11], v60, s[0:1] offset:16
	v_and_b32_e32 v16, 0xff, v59
	v_add_co_u32 v61, null, v150, 51
	v_add_co_u32 v62, null, 0x44, v150
	s_delay_alu instid0(VALU_DEP_3) | instskip(NEXT) | instid1(VALU_DEP_3)
	v_mul_lo_u16 v16, 0xf1, v16
	v_and_b32_e32 v17, 0xff, v61
	v_add_nc_u32_e32 v128, 0x800, v178
	s_delay_alu instid0(VALU_DEP_4) | instskip(SKIP_3) | instid1(VALU_DEP_2)
	v_and_b32_e32 v18, 0xff, v62
	v_lshl_add_u32 v181, v150, 3, v172
	v_lshrrev_b16 v16, 12, v16
	v_mul_lo_u16 v17, 0xf1, v17
	v_mul_lo_u16 v16, v16, 17
	s_delay_alu instid0(VALU_DEP_2) | instskip(NEXT) | instid1(VALU_DEP_2)
	v_lshrrev_b16 v17, 12, v17
	v_sub_nc_u16 v63, v59, v16
	v_mul_lo_u16 v16, 0xf1, v18
	s_delay_alu instid0(VALU_DEP_3) | instskip(NEXT) | instid1(VALU_DEP_3)
	v_mul_lo_u16 v17, v17, 17
	v_lshlrev_b16 v18, 2, v63
	s_delay_alu instid0(VALU_DEP_3) | instskip(NEXT) | instid1(VALU_DEP_3)
	v_lshrrev_b16 v16, 12, v16
	v_sub_nc_u16 v65, v61, v17
	s_delay_alu instid0(VALU_DEP_3) | instskip(NEXT) | instid1(VALU_DEP_3)
	v_and_b32_e32 v17, 0xfc, v18
	v_mul_lo_u16 v16, v16, 17
	s_delay_alu instid0(VALU_DEP_3) | instskip(SKIP_1) | instid1(VALU_DEP_4)
	v_lshlrev_b16 v18, 2, v65
	v_and_b32_e32 v65, 0xff, v65
	v_lshlrev_b32_e32 v17, 3, v17
	s_delay_alu instid0(VALU_DEP_4) | instskip(NEXT) | instid1(VALU_DEP_4)
	v_sub_nc_u16 v64, v62, v16
	v_and_b32_e32 v16, 0xfc, v18
	global_load_b128 v[194:197], v17, s[0:1]
	v_lshlrev_b16 v18, 2, v64
	v_lshlrev_b32_e32 v16, 3, v16
	s_clause 0x1
	global_load_b128 v[190:193], v17, s[0:1] offset:16
	global_load_b128 v[38:41], v16, s[0:1]
	v_and_b32_e32 v17, 0xfc, v18
	s_delay_alu instid0(VALU_DEP_1)
	v_lshlrev_b32_e32 v17, 3, v17
	s_clause 0x2
	global_load_b128 v[34:37], v16, s[0:1] offset:16
	global_load_b128 v[24:27], v17, s[0:1]
	global_load_b128 v[30:33], v17, s[0:1] offset:16
	ds_load_2addr_b64 v[44:47], v178 offset0:68 offset1:85
	ds_load_2addr_b64 v[66:69], v178 offset0:170 offset1:187
	;; [unrolled: 1-line block ×6, first 2 shown]
	ds_load_2addr_b64 v[52:55], v178 offset1:17
	ds_load_2addr_b64 v[48:51], v178 offset0:34 offset1:51
	ds_load_2addr_b64 v[92:95], v178 offset0:204 offset1:221
	;; [unrolled: 1-line block ×3, first 2 shown]
	ds_load_b64 v[74:75], v178 offset:3264
	ds_load_2addr_b64 v[100:103], v128 offset0:118 offset1:135
	ds_load_2addr_b64 v[107:110], v128 offset0:50 offset1:67
	s_wait_loadcnt_dscnt 0x70b
	v_mul_f32_e32 v118, v68, v15
	v_mul_f32_e32 v56, v47, v13
	v_dual_mul_f32 v57, v46, v13 :: v_dual_mul_f32 v104, v67, v15
	v_mul_f32_e32 v105, v66, v15
	s_wait_loadcnt_dscnt 0x60a
	v_mul_f32_e32 v111, v73, v9
	s_wait_dscnt 0x9
	v_dual_mul_f32 v112, v72, v9 :: v_dual_mul_f32 v113, v81, v11
	s_wait_dscnt 0x8
	v_dual_mul_f32 v115, v85, v13 :: v_dual_mul_f32 v114, v80, v11
	v_dual_mul_f32 v116, v84, v13 :: v_dual_mul_f32 v121, v83, v11
	v_mul_f32_e32 v117, v69, v15
	s_wait_dscnt 0x7
	v_dual_mul_f32 v119, v89, v9 :: v_dual_mul_f32 v122, v82, v11
	v_dual_mul_f32 v120, v88, v9 :: v_dual_fmac_f32 v57, v47, v12
	v_fma_f32 v46, v46, v12, -v56
	v_fma_f32 v47, v66, v14, -v104
	v_dual_fmac_f32 v105, v67, v14 :: v_dual_fmac_f32 v112, v73, v8
	v_fma_f32 v66, v72, v8, -v111
	v_fma_f32 v104, v80, v10, -v113
	;; [unrolled: 1-line block ×3, first 2 shown]
	v_dual_fmac_f32 v114, v81, v10 :: v_dual_sub_f32 v73, v46, v47
	v_fmac_f32_e32 v116, v85, v12
	v_fma_f32 v67, v68, v14, -v117
	v_dual_fmac_f32 v118, v69, v14 :: v_dual_add_f32 v81, v46, v104
	v_fma_f32 v72, v88, v8, -v119
	v_dual_fmac_f32 v120, v89, v8 :: v_dual_sub_f32 v115, v47, v66
	v_fma_f32 v84, v82, v10, -v121
	v_dual_fmac_f32 v122, v83, v10 :: v_dual_sub_f32 v85, v105, v112
	s_wait_dscnt 0x6
	v_dual_add_f32 v68, v52, v46 :: v_dual_add_f32 v89, v53, v57
	v_add_f32_e32 v69, v47, v66
	v_dual_sub_f32 v80, v104, v66 :: v_dual_add_f32 v111, v105, v112
	v_dual_add_f32 v125, v54, v56 :: v_dual_sub_f32 v188, v120, v122
	v_dual_sub_f32 v83, v57, v114 :: v_dual_sub_f32 v88, v66, v104
	v_dual_sub_f32 v82, v47, v46 :: v_dual_sub_f32 v113, v46, v104
	;; [unrolled: 1-line block ×4, first 2 shown]
	v_dual_add_f32 v121, v57, v114 :: v_dual_add_f32 v126, v67, v72
	v_dual_sub_f32 v123, v105, v57 :: v_dual_add_f32 v132, v56, v84
	v_dual_sub_f32 v127, v116, v122 :: v_dual_sub_f32 v186, v122, v120
	v_dual_sub_f32 v129, v118, v120 :: v_dual_add_f32 v68, v68, v47
	v_sub_f32_e32 v133, v67, v56
	v_sub_f32_e32 v176, v56, v84
	;; [unrolled: 1-line block ×3, first 2 shown]
	v_dual_add_f32 v187, v116, v122 :: v_dual_add_f32 v88, v82, v88
	v_fma_f32 v46, -0.5, v69, v52
	v_add_f32_e32 v135, v55, v116
	v_add_f32_e32 v175, v118, v120
	v_sub_f32_e32 v116, v118, v116
	v_fma_f32 v56, -0.5, v81, v52
	v_add_f32_e32 v189, v73, v80
	v_add_f32_e32 v73, v125, v67
	v_sub_f32_e32 v131, v84, v72
	v_dual_sub_f32 v134, v72, v84 :: v_dual_add_f32 v69, v89, v105
	v_sub_f32_e32 v183, v67, v72
	v_fma_f32 v47, -0.5, v111, v53
	v_add_f32_e32 v89, v117, v119
	v_fma_f32 v57, -0.5, v121, v53
	v_fma_f32 v52, -0.5, v126, v54
	;; [unrolled: 1-line block ×3, first 2 shown]
	v_add_f32_e32 v116, v116, v188
	v_add_f32_e32 v82, v68, v66
	v_fmamk_f32 v68, v85, 0xbf737871, v56
	v_fmamk_f32 v66, v83, 0x3f737871, v46
	v_fma_f32 v53, -0.5, v175, v55
	v_dual_fmac_f32 v56, 0x3f737871, v85 :: v_dual_add_f32 v119, v73, v72
	v_add_f32_e32 v105, v123, v124
	v_dual_add_f32 v117, v133, v134 :: v_dual_fmamk_f32 v72, v127, 0x3f737871, v52
	v_fmac_f32_e32 v55, -0.5, v187
	v_dual_fmac_f32 v46, 0xbf737871, v83 :: v_dual_add_f32 v81, v135, v118
	v_fmamk_f32 v80, v129, 0xbf737871, v54
	v_dual_add_f32 v118, v185, v186 :: v_dual_add_f32 v111, v130, v131
	v_add_f32_e32 v112, v69, v112
	v_dual_fmamk_f32 v67, v113, 0xbf737871, v47 :: v_dual_add_f32 v82, v82, v104
	v_dual_fmac_f32 v47, 0x3f737871, v113 :: v_dual_add_f32 v120, v81, v120
	s_wait_loadcnt_dscnt 0x504
	v_dual_fmamk_f32 v69, v115, 0x3f737871, v57 :: v_dual_mul_f32 v104, v93, v197
	v_dual_fmac_f32 v52, 0xbf737871, v127 :: v_dual_fmamk_f32 v73, v176, 0xbf737871, v53
	v_fmac_f32_e32 v53, 0x3f737871, v176
	v_fmac_f32_e32 v66, 0x3f167918, v85
	v_dual_fmac_f32 v57, 0xbf737871, v115 :: v_dual_add_f32 v84, v119, v84
	v_fmac_f32_e32 v68, 0x3f167918, v83
	v_dual_fmac_f32 v56, 0xbf167918, v83 :: v_dual_fmac_f32 v69, 0xbf167918, v113
	v_dual_fmac_f32 v54, 0x3f737871, v129 :: v_dual_fmamk_f32 v81, v183, 0x3f737871, v55
	v_fmac_f32_e32 v55, 0xbf737871, v183
	v_dual_fmac_f32 v46, 0xbf167918, v85 :: v_dual_add_f32 v83, v112, v114
	v_dual_fmac_f32 v67, 0xbf167918, v115 :: v_dual_fmac_f32 v52, 0xbf167918, v129
	v_dual_fmac_f32 v47, 0x3f167918, v115 :: v_dual_fmac_f32 v72, 0x3f167918, v129
	v_fmac_f32_e32 v57, 0x3f167918, v113
	s_delay_alu instid0(VALU_DEP_3) | instskip(NEXT) | instid1(VALU_DEP_3)
	v_dual_fmac_f32 v68, 0x3e9e377a, v88 :: v_dual_fmac_f32 v67, 0x3e9e377a, v89
	v_dual_fmac_f32 v56, 0x3e9e377a, v88 :: v_dual_fmac_f32 v47, 0x3e9e377a, v89
	v_mul_f32_e32 v88, v87, v195
	v_fmac_f32_e32 v73, 0xbf167918, v183
	s_wait_loadcnt 0x4
	v_mul_f32_e32 v112, v90, v191
	s_wait_loadcnt_dscnt 0x103
	v_dual_fmac_f32 v53, 0x3f167918, v183 :: v_dual_mul_f32 v124, v98, v25
	v_dual_fmac_f32 v80, 0x3f167918, v127 :: v_dual_add_f32 v85, v120, v122
	s_delay_alu instid0(VALU_DEP_2)
	v_dual_fmac_f32 v46, 0x3e9e377a, v189 :: v_dual_fmac_f32 v53, 0x3e9e377a, v118
	v_dual_fmac_f32 v69, 0x3e9e377a, v105 :: v_dual_fmac_f32 v72, 0x3e9e377a, v111
	;; [unrolled: 1-line block ×3, first 2 shown]
	s_wait_dscnt 0x1
	v_dual_mul_f32 v113, v101, v193 :: v_dual_mul_f32 v126, v70, v27
	v_mul_f32_e32 v114, v100, v193
	v_dual_fmac_f32 v54, 0xbf167918, v127 :: v_dual_fmac_f32 v81, 0xbf167918, v176
	v_dual_mul_f32 v111, v91, v191 :: v_dual_mul_f32 v122, v102, v37
	s_delay_alu instid0(VALU_DEP_3)
	v_fmac_f32_e32 v114, v101, v192
	v_dual_fmac_f32 v66, 0x3e9e377a, v189 :: v_dual_fmac_f32 v73, 0x3e9e377a, v118
	v_dual_mul_f32 v118, v94, v41 :: v_dual_fmac_f32 v55, 0x3f167918, v176
	v_dual_fmac_f32 v80, 0x3e9e377a, v117 :: v_dual_fmac_f32 v81, 0x3e9e377a, v116
	v_dual_fmac_f32 v54, 0x3e9e377a, v117 :: v_dual_mul_f32 v89, v86, v195
	s_wait_loadcnt 0x0
	s_delay_alu instid0(VALU_DEP_3)
	v_dual_mul_f32 v130, v75, v33 :: v_dual_fmac_f32 v55, 0x3e9e377a, v116
	s_wait_dscnt 0x0
	v_dual_mul_f32 v105, v92, v197 :: v_dual_mul_f32 v120, v107, v35
	v_dual_mul_f32 v115, v97, v39 :: v_dual_fmac_f32 v112, v91, v190
	v_dual_mul_f32 v116, v96, v39 :: v_dual_mul_f32 v117, v95, v41
	v_dual_mul_f32 v119, v108, v35 :: v_dual_fmac_f32 v118, v95, v40
	v_fma_f32 v86, v86, v194, -v88
	v_mul_f32_e32 v123, v99, v25
	v_fma_f32 v88, v90, v190, -v111
	v_fma_f32 v100, v100, v192, -v113
	v_mul_f32_e32 v125, v71, v27
	v_dual_mul_f32 v121, v103, v37 :: v_dual_fmac_f32 v120, v108, v34
	v_dual_mul_f32 v127, v110, v31 :: v_dual_fmac_f32 v122, v103, v36
	;; [unrolled: 1-line block ×4, first 2 shown]
	v_fmac_f32_e32 v89, v87, v194
	v_fma_f32 v87, v92, v196, -v104
	v_fma_f32 v90, v96, v38, -v115
	v_fmac_f32_e32 v116, v97, v38
	v_fma_f32 v91, v94, v40, -v117
	v_fmac_f32_e32 v105, v93, v196
	v_fma_f32 v92, v107, v34, -v119
	v_fma_f32 v94, v70, v26, -v125
	v_add_f32_e32 v70, v48, v86
	v_fma_f32 v93, v98, v24, -v123
	s_clause 0x1
	scratch_store_b128 off, v[190:193], off offset:48
	scratch_store_b128 off, v[38:41], off offset:32
	v_fma_f32 v102, v102, v36, -v121
	v_fma_f32 v96, v109, v30, -v127
	;; [unrolled: 1-line block ×3, first 2 shown]
	v_dual_add_f32 v71, v87, v88 :: v_dual_sub_f32 v74, v86, v87
	s_delay_alu instid0(VALU_DEP_4)
	v_sub_f32_e32 v132, v92, v102
	v_dual_fmac_f32 v129, v110, v30 :: v_dual_add_f32 v104, v49, v89
	v_dual_add_f32 v95, v86, v100 :: v_dual_add_f32 v186, v44, v93
	v_dual_sub_f32 v97, v87, v86 :: v_dual_sub_f32 v110, v114, v112
	v_sub_f32_e32 v98, v88, v100
	v_add_f32_e32 v117, v91, v92
	v_sub_f32_e32 v130, v91, v90
	v_fmac_f32_e32 v131, v75, v32
	v_dual_sub_f32 v75, v100, v88 :: v_dual_sub_f32 v190, v93, v94
	v_add_f32_e32 v133, v51, v116
	scratch_store_b128 off, v[194:197], off offset:64 ; 16-byte Folded Spill
	v_dual_sub_f32 v101, v89, v114 :: v_dual_sub_f32 v108, v86, v100
	v_sub_f32_e32 v103, v105, v112
	v_dual_sub_f32 v109, v87, v88 :: v_dual_add_f32 v192, v93, v99
	v_sub_f32_e32 v86, v89, v105
	v_dual_add_f32 v107, v105, v112 :: v_dual_sub_f32 v188, v124, v131
	v_dual_add_f32 v111, v89, v114 :: v_dual_add_f32 v134, v118, v120
	v_dual_sub_f32 v89, v105, v89 :: v_dual_sub_f32 v176, v122, v120
	v_sub_f32_e32 v113, v112, v114
	v_dual_add_f32 v115, v50, v90 :: v_dual_sub_f32 v194, v96, v99
	v_dual_sub_f32 v119, v116, v122 :: v_dual_sub_f32 v198, v94, v96
	v_sub_f32_e32 v175, v91, v92
	v_add_f32_e32 v195, v45, v124
	v_sub_f32_e32 v125, v102, v92
	v_add_f32_e32 v196, v126, v129
	v_add_f32_e32 v200, v74, v75
	v_sub_f32_e32 v123, v90, v91
	v_add_f32_e32 v201, v97, v98
	v_fma_f32 v74, -0.5, v117, v50
	v_dual_sub_f32 v193, v94, v93 :: v_dual_add_f32 v98, v133, v118
	v_sub_f32_e32 v197, v93, v99
	v_add_f32_e32 v93, v70, v87
	v_fma_f32 v70, -0.5, v71, v48
	v_add_f32_e32 v127, v90, v102
	v_sub_f32_e32 v135, v90, v102
	v_sub_f32_e32 v90, v116, v118
	v_fma_f32 v48, -0.5, v95, v48
	v_add_f32_e32 v187, v94, v96
	v_dual_add_f32 v95, v104, v105 :: v_dual_add_f32 v104, v186, v94
	v_sub_f32_e32 v121, v118, v120
	v_sub_f32_e32 v185, v120, v122
	;; [unrolled: 1-line block ×3, first 2 shown]
	v_dual_add_f32 v183, v116, v122 :: v_dual_sub_f32 v116, v118, v116
	v_fma_f32 v71, -0.5, v107, v49
	v_add_f32_e32 v105, v86, v110
	v_add_f32_e32 v118, v195, v126
	;; [unrolled: 1-line block ×6, first 2 shown]
	v_fmamk_f32 v88, v101, 0x3f737871, v70
	v_dual_fmac_f32 v70, 0xbf737871, v101 :: v_dual_add_f32 v113, v90, v176
	v_fmamk_f32 v90, v103, 0xbf737871, v48
	v_fmac_f32_e32 v48, 0x3f737871, v103
	v_fma_f32 v86, -0.5, v187, v44
	s_delay_alu instid0(VALU_DEP_4)
	v_fmac_f32_e32 v70, 0xbf167918, v103
	v_fma_f32 v44, -0.5, v192, v44
	v_fma_f32 v49, -0.5, v111, v49
	;; [unrolled: 1-line block ×3, first 2 shown]
	v_fmamk_f32 v96, v188, 0x3f737871, v86
	v_dual_fmac_f32 v86, 0xbf737871, v188 :: v_dual_sub_f32 v189, v126, v129
	v_add_f32_e32 v112, v95, v112
	v_dual_add_f32 v97, v115, v91 :: v_dual_add_f32 v120, v98, v120
	v_dual_add_f32 v199, v124, v131 :: v_dual_fmamk_f32 v94, v121, 0xbf737871, v50
	s_delay_alu instid0(VALU_DEP_4) | instskip(NEXT) | instid1(VALU_DEP_3)
	v_fmamk_f32 v98, v189, 0xbf737871, v44
	v_dual_fmac_f32 v44, 0x3f737871, v189 :: v_dual_add_f32 v125, v97, v92
	v_fmamk_f32 v92, v119, 0x3f737871, v74
	v_dual_fmac_f32 v74, 0xbf737871, v119 :: v_dual_fmamk_f32 v89, v108, 0xbf737871, v71
	v_dual_fmac_f32 v71, 0x3f737871, v108 :: v_dual_add_f32 v104, v104, v99
	v_fmamk_f32 v91, v109, 0x3f737871, v49
	v_fmac_f32_e32 v49, 0xbf737871, v109
	v_fmac_f32_e32 v92, 0x3f167918, v121
	;; [unrolled: 1-line block ×3, first 2 shown]
	v_dual_fmac_f32 v50, 0x3f737871, v121 :: v_dual_add_f32 v111, v130, v132
	v_fmac_f32_e32 v88, 0x3f167918, v103
	v_fma_f32 v75, -0.5, v134, v51
	v_dual_add_f32 v115, v116, v185 :: v_dual_add_f32 v102, v125, v102
	v_add_f32_e32 v116, v190, v191
	v_dual_fmac_f32 v51, -0.5, v183 :: v_dual_fmac_f32 v90, 0x3f167918, v101
	v_dual_add_f32 v117, v193, v194 :: v_dual_fmac_f32 v48, 0xbf167918, v101
	v_dual_add_f32 v101, v112, v114 :: v_dual_fmac_f32 v94, 0x3f167918, v119
	v_dual_fmac_f32 v71, 0x3f167918, v109 :: v_dual_fmac_f32 v98, 0x3f167918, v188
	v_dual_fmac_f32 v91, 0xbf167918, v108 :: v_dual_fmac_f32 v86, 0xbf167918, v189
	v_fmac_f32_e32 v92, 0x3e9e377a, v110
	v_fmac_f32_e32 v74, 0x3e9e377a, v110
	v_dual_sub_f32 v110, v129, v131 :: v_dual_fmac_f32 v49, 0x3f167918, v108
	v_fmac_f32_e32 v96, 0x3f167918, v189
	v_sub_f32_e32 v108, v131, v129
	v_dual_fmac_f32 v89, 0xbf167918, v109 :: v_dual_fmac_f32 v50, 0xbf167918, v119
	v_dual_add_f32 v103, v120, v122 :: v_dual_fmac_f32 v44, 0xbf167918, v188
	v_fma_f32 v87, -0.5, v196, v45
	s_delay_alu instid0(VALU_DEP_3)
	v_dual_fmac_f32 v88, 0x3e9e377a, v200 :: v_dual_fmac_f32 v89, 0x3e9e377a, v105
	v_dual_fmac_f32 v70, 0x3e9e377a, v200 :: v_dual_fmac_f32 v71, 0x3e9e377a, v105
	v_dual_fmac_f32 v94, 0x3e9e377a, v111 :: v_dual_add_f32 v105, v118, v129
	v_dual_fmac_f32 v98, 0x3e9e377a, v117 :: v_dual_fmac_f32 v45, -0.5, v199
	v_add_f32_e32 v100, v123, v100
	v_dual_fmac_f32 v90, 0x3e9e377a, v201 :: v_dual_fmac_f32 v91, 0x3e9e377a, v107
	v_dual_fmac_f32 v48, 0x3e9e377a, v201 :: v_dual_fmac_f32 v49, 0x3e9e377a, v107
	v_dual_fmac_f32 v50, 0x3e9e377a, v111 :: v_dual_sub_f32 v107, v124, v126
	v_dual_fmac_f32 v44, 0x3e9e377a, v117 :: v_dual_sub_f32 v109, v126, v124
	v_fmamk_f32 v93, v135, 0xbf737871, v75
	v_fmamk_f32 v95, v175, 0x3f737871, v51
	v_fmac_f32_e32 v51, 0xbf737871, v175
	s_clause 0x1
	scratch_store_b128 off, v[34:37], off offset:16
	scratch_store_b128 off, v[24:27], off
	v_fmamk_f32 v97, v197, 0xbf737871, v87
	v_add_f32_e32 v105, v105, v131
	global_wb scope:SCOPE_SE
	s_wait_storecnt 0x0
	s_barrier_signal -1
	s_barrier_wait -1
	global_inv scope:SCOPE_SE
	ds_store_2addr_b64 v178, v[68:69], v[56:57] offset0:34 offset1:51
	v_and_b32_e32 v56, 0xff, v64
	v_fmac_f32_e32 v75, 0x3f737871, v135
	v_fmac_f32_e32 v87, 0x3f737871, v197
	v_fmamk_f32 v99, v198, 0x3f737871, v45
	v_fmac_f32_e32 v45, 0xbf737871, v198
	v_and_b32_e32 v57, 0xff, v63
	v_lshl_add_u32 v185, v65, 3, v172
	v_dual_add_f32 v107, v107, v108 :: v_dual_add_f32 v108, v109, v110
	v_fmac_f32_e32 v93, 0xbf167918, v175
	v_fmac_f32_e32 v95, 0xbf167918, v135
	;; [unrolled: 1-line block ×4, first 2 shown]
	v_lshl_add_u32 v182, v56, 3, v172
	v_fmac_f32_e32 v75, 0x3f167918, v175
	v_fmac_f32_e32 v87, 0x3f167918, v198
	;; [unrolled: 1-line block ×4, first 2 shown]
	v_lshl_add_u32 v186, v57, 3, v172
	v_fmac_f32_e32 v93, 0x3e9e377a, v113
	ds_store_2addr_b64 v178, v[46:47], v[84:85] offset0:68 offset1:85
	v_add_nc_u32_e32 v46, 0x400, v185
	v_dual_fmac_f32 v95, 0x3e9e377a, v115 :: v_dual_fmac_f32 v96, 0x3e9e377a, v116
	v_dual_fmac_f32 v51, 0x3e9e377a, v115 :: v_dual_fmac_f32 v86, 0x3e9e377a, v116
	v_add_nc_u32_e32 v47, 0x800, v185
	v_fmac_f32_e32 v97, 0x3e9e377a, v107
	ds_store_2addr_b64 v178, v[54:55], v[52:53] offset0:136 offset1:153
	v_add_nc_u32_e32 v52, 0x800, v182
	v_fmac_f32_e32 v75, 0x3e9e377a, v113
	v_fmac_f32_e32 v87, 0x3e9e377a, v107
	;; [unrolled: 1-line block ×4, first 2 shown]
	ds_store_2addr_b64 v178, v[82:83], v[66:67] offset1:17
	ds_store_2addr_b64 v178, v[72:73], v[80:81] offset0:102 offset1:119
	ds_store_2addr_b64 v186, v[100:101], v[88:89] offset0:170 offset1:187
	ds_store_2addr_b64 v186, v[90:91], v[48:49] offset0:204 offset1:221
	ds_store_2addr_b64 v46, v[102:103], v[92:93] offset0:127 offset1:144
	ds_store_2addr_b64 v47, v[94:95], v[50:51] offset0:33 offset1:50
	ds_store_2addr_b64 v52, v[104:105], v[96:97] offset0:84 offset1:101
	ds_store_2addr_b64 v52, v[98:99], v[44:45] offset0:118 offset1:135
	ds_store_b64 v186, v[70:71] offset:1904
	ds_store_b64 v185, v[74:75] offset:2584
	ds_store_b64 v182, v[86:87] offset:3264
	v_lshlrev_b32_e32 v44, 5, v58
	global_wb scope:SCOPE_SE
	s_wait_dscnt 0x0
	s_barrier_signal -1
	s_barrier_wait -1
	global_inv scope:SCOPE_SE
	s_clause 0x2
	global_load_b128 v[68:71], v60, s[0:1] offset:544
	global_load_b128 v[80:83], v60, s[0:1] offset:560
	;; [unrolled: 1-line block ×3, first 2 shown]
	v_lshlrev_b32_e32 v45, 5, v59
	s_clause 0x1
	global_load_b128 v[84:87], v44, s[0:1] offset:560
	global_load_b128 v[64:67], v45, s[0:1] offset:544
	v_lshlrev_b32_e32 v44, 5, v61
	s_clause 0x1
	global_load_b128 v[72:75], v45, s[0:1] offset:560
	global_load_b128 v[48:51], v44, s[0:1] offset:544
	;; [unrolled: 4-line block ×3, first 2 shown]
	global_load_b128 v[44:47], v45, s[0:1] offset:560
	ds_load_2addr_b64 v[92:95], v178 offset0:68 offset1:85
	ds_load_2addr_b64 v[96:99], v178 offset0:170 offset1:187
	;; [unrolled: 1-line block ×6, first 2 shown]
	ds_load_2addr_b64 v[102:105], v178 offset1:17
	ds_load_2addr_b64 v[88:91], v178 offset0:34 offset1:51
	ds_load_2addr_b64 v[129:132], v178 offset0:204 offset1:221
	ds_load_2addr_b64 v[188:191], v128 offset0:118 offset1:135
	ds_load_2addr_b64 v[192:195], v178 offset0:136 offset1:153
	ds_load_2addr_b64 v[196:199], v128 offset0:50 offset1:67
	ds_load_b64 v[133:134], v178 offset:3264
	s_add_nc_u64 s[0:1], s[12:13], 0xd48
	s_wait_loadcnt_dscnt 0x90c
	v_mul_f32_e32 v100, v95, v69
	v_mul_f32_e32 v127, v94, v69
	s_wait_loadcnt_dscnt 0x80a
	v_mul_f32_e32 v176, v113, v81
	s_wait_dscnt 0x9
	v_mul_f32_e32 v200, v115, v83
	s_wait_loadcnt_dscnt 0x708
	v_mul_f32_e32 v202, v119, v53
	s_wait_loadcnt_dscnt 0x607
	v_dual_mul_f32 v206, v123, v85 :: v_dual_mul_f32 v101, v97, v71
	v_mul_f32_e32 v208, v117, v87
	s_wait_loadcnt 0x5
	v_dual_mul_f32 v135, v96, v71 :: v_dual_mul_f32 v210, v121, v65
	v_mul_f32_e32 v183, v116, v83
	s_wait_dscnt 0x4
	v_dual_mul_f32 v212, v129, v67 :: v_dual_mul_f32 v201, v120, v53
	s_wait_loadcnt 0x4
	v_dual_mul_f32 v214, v125, v73 :: v_dual_mul_f32 v203, v99, v55
	s_wait_dscnt 0x3
	v_dual_mul_f32 v216, v188, v75 :: v_dual_mul_f32 v175, v114, v81
	v_mul_f32_e32 v204, v98, v55
	s_wait_loadcnt_dscnt 0x302
	v_mul_f32_e32 v218, v192, v49
	v_dual_mul_f32 v205, v124, v85 :: v_dual_mul_f32 v220, v131, v51
	s_wait_loadcnt_dscnt 0x201
	v_dual_mul_f32 v207, v118, v87 :: v_dual_mul_f32 v222, v196, v61
	v_mul_f32_e32 v209, v122, v65
	v_mul_f32_e32 v224, v190, v63
	;; [unrolled: 1-line block ×3, first 2 shown]
	s_wait_loadcnt 0x1
	v_dual_mul_f32 v108, v111, v59 :: v_dual_mul_f32 v213, v126, v73
	s_wait_loadcnt_dscnt 0x0
	v_mul_f32_e32 v110, v133, v47
	v_mul_f32_e32 v215, v189, v75
	v_fma_f32 v94, v94, v68, -v100
	v_dual_mul_f32 v217, v193, v49 :: v_dual_fmac_f32 v176, v114, v80
	v_fmac_f32_e32 v200, v116, v82
	v_fmac_f32_e32 v206, v124, v84
	s_delay_alu instid0(VALU_DEP_4)
	v_add_f32_e32 v114, v102, v94
	v_fmac_f32_e32 v208, v118, v86
	v_fmac_f32_e32 v210, v122, v64
	v_fma_f32 v100, v115, v82, -v183
	v_fmac_f32_e32 v212, v130, v66
	v_fmac_f32_e32 v214, v126, v72
	v_fma_f32 v98, v98, v54, -v203
	v_fmac_f32_e32 v127, v95, v68
	v_fma_f32 v95, v96, v70, -v101
	v_mul_f32_e32 v221, v197, v61
	v_fmac_f32_e32 v135, v97, v70
	v_mul_f32_e32 v219, v132, v51
	v_fma_f32 v96, v119, v52, -v201
	v_fmac_f32_e32 v216, v189, v74
	v_fma_f32 v97, v113, v80, -v175
	v_dual_mul_f32 v223, v191, v63 :: v_dual_add_f32 v118, v94, v100
	v_mul_f32_e32 v225, v195, v57
	v_dual_mul_f32 v107, v194, v57 :: v_dual_mul_f32 v226, v112, v59
	v_dual_mul_f32 v227, v199, v45 :: v_dual_add_f32 v130, v104, v96
	v_mul_f32_e32 v228, v134, v47
	v_fmac_f32_e32 v202, v120, v52
	v_fmac_f32_e32 v204, v99, v54
	v_fma_f32 v189, v192, v48, -v217
	v_fmac_f32_e32 v218, v193, v48
	v_fma_f32 v175, v123, v84, -v205
	v_fmac_f32_e32 v220, v132, v50
	v_fma_f32 v183, v117, v86, -v207
	v_fmac_f32_e32 v222, v197, v60
	v_fma_f32 v113, v121, v64, -v209
	v_fmac_f32_e32 v224, v191, v62
	v_fma_f32 v119, v129, v66, -v211
	v_fmac_f32_e32 v108, v112, v58
	v_fma_f32 v201, v125, v72, -v213
	v_fmac_f32_e32 v110, v134, v46
	v_fma_f32 v203, v188, v74, -v215
	v_dual_add_f32 v115, v95, v97 :: v_dual_sub_f32 v116, v94, v95
	v_fma_f32 v207, v196, v60, -v221
	v_dual_sub_f32 v120, v95, v94 :: v_dual_sub_f32 v121, v97, v100
	v_dual_sub_f32 v132, v96, v98 :: v_dual_mul_f32 v109, v198, v45
	v_add_f32_e32 v122, v103, v127
	v_add_f32_e32 v126, v127, v200
	v_sub_f32_e32 v192, v135, v176
	v_fma_f32 v205, v131, v50, -v219
	v_add_f32_e32 v123, v135, v176
	v_fma_f32 v197, v190, v62, -v223
	v_dual_fmac_f32 v107, v195, v56 :: v_dual_add_f32 v134, v96, v183
	v_fma_f32 v99, v111, v58, -v226
	v_fma_f32 v111, v198, v44, -v227
	v_dual_fmac_f32 v109, v199, v44 :: v_dual_add_f32 v196, v105, v202
	v_fma_f32 v112, v133, v46, -v228
	v_dual_sub_f32 v191, v127, v200 :: v_dual_add_f32 v198, v204, v206
	v_dual_sub_f32 v117, v100, v97 :: v_dual_sub_f32 v124, v127, v135
	v_sub_f32_e32 v94, v94, v100
	v_fma_f32 v101, v194, v56, -v225
	v_dual_sub_f32 v193, v95, v97 :: v_dual_sub_f32 v188, v98, v96
	v_dual_sub_f32 v125, v200, v176 :: v_dual_sub_f32 v226, v203, v201
	v_sub_f32_e32 v127, v135, v127
	v_dual_sub_f32 v129, v176, v200 :: v_dual_sub_f32 v228, v119, v113
	v_dual_sub_f32 v194, v202, v208 :: v_dual_sub_f32 v195, v204, v206
	v_sub_f32_e32 v232, v113, v203
	v_sub_f32_e32 v190, v175, v183
	v_dual_sub_f32 v199, v96, v183 :: v_dual_add_f32 v236, v210, v216
	v_dual_sub_f32 v96, v202, v204 :: v_dual_sub_f32 v211, v208, v206
	v_add_f32_e32 v238, v90, v189
	v_dual_add_f32 v213, v202, v208 :: v_dual_sub_f32 v242, v189, v205
	v_sub_f32_e32 v202, v204, v202
	v_dual_add_f32 v217, v88, v113 :: v_dual_sub_f32 v240, v218, v224
	v_sub_f32_e32 v225, v113, v119
	v_dual_add_f32 v227, v113, v203 :: v_dual_add_f32 v250, v124, v125
	v_fma_f32 v113, -0.5, v115, v102
	v_fma_f32 v115, -0.5, v118, v102
	v_dual_add_f32 v102, v120, v121 :: v_dual_add_f32 v95, v114, v95
	v_fma_f32 v114, -0.5, v123, v103
	v_add_f32_e32 v239, v205, v207
	v_dual_add_f32 v131, v98, v175 :: v_dual_add_f32 v230, v89, v210
	v_dual_sub_f32 v133, v183, v175 :: v_dual_sub_f32 v234, v210, v212
	v_sub_f32_e32 v209, v98, v175
	v_dual_sub_f32 v215, v206, v208 :: v_dual_add_f32 v244, v189, v197
	v_dual_add_f32 v219, v119, v201 :: v_dual_add_f32 v248, v220, v222
	v_dual_sub_f32 v229, v201, v203 :: v_dual_add_f32 v98, v130, v98
	v_add_f32_e32 v231, v212, v214
	v_dual_sub_f32 v233, v119, v201 :: v_dual_add_f32 v130, v196, v204
	v_sub_f32_e32 v235, v216, v214
	v_sub_f32_e32 v237, v214, v216
	v_dual_add_f32 v249, v116, v117 :: v_dual_add_f32 v98, v98, v175
	v_fma_f32 v116, -0.5, v126, v103
	v_add_f32_e32 v135, v122, v135
	v_fma_f32 v118, -0.5, v198, v105
	v_add_f32_e32 v251, v188, v190
	v_add_f32_e32 v198, v96, v211
	;; [unrolled: 1-line block ×3, first 2 shown]
	v_fmamk_f32 v124, v94, 0xbf737871, v114
	v_fma_f32 v96, -0.5, v239, v90
	v_dual_sub_f32 v221, v210, v216 :: v_dual_sub_f32 v246, v207, v197
	v_dual_sub_f32 v223, v212, v214 :: v_dual_add_f32 v202, v202, v215
	v_sub_f32_e32 v210, v212, v210
	v_sub_f32_e32 v241, v220, v222
	v_dual_sub_f32 v243, v197, v207 :: v_dual_fmac_f32 v114, 0x3f737871, v94
	v_sub_f32_e32 v245, v205, v189
	v_dual_add_f32 v247, v91, v218 :: v_dual_fmamk_f32 v126, v193, 0x3f737871, v116
	v_fma_f32 v117, -0.5, v131, v104
	v_fma_f32 v104, -0.5, v134, v104
	v_add_f32_e32 v103, v127, v129
	v_add_f32_e32 v127, v132, v133
	;; [unrolled: 1-line block ×3, first 2 shown]
	v_fma_f32 v119, -0.5, v219, v88
	v_add_f32_e32 v204, v225, v226
	v_fma_f32 v121, -0.5, v227, v88
	v_add_f32_e32 v88, v230, v212
	v_fma_f32 v120, -0.5, v231, v89
	v_dual_fmac_f32 v105, -0.5, v213 :: v_dual_add_f32 v212, v234, v235
	v_fma_f32 v122, -0.5, v236, v89
	v_fma_f32 v90, -0.5, v244, v90
	s_delay_alu instid0(VALU_DEP_4)
	v_dual_fmamk_f32 v134, v232, 0xbf737871, v120 :: v_dual_add_f32 v95, v95, v97
	v_fmamk_f32 v123, v191, 0x3f737871, v113
	v_fmamk_f32 v125, v192, 0xbf737871, v115
	v_fmac_f32_e32 v115, 0x3f737871, v192
	v_dual_fmac_f32 v116, 0xbf737871, v193 :: v_dual_add_f32 v97, v135, v176
	v_dual_fmac_f32 v124, 0xbf167918, v193 :: v_dual_add_f32 v135, v130, v206
	v_fmac_f32_e32 v114, 0x3f167918, v193
	v_add_f32_e32 v206, v188, v207
	v_fmamk_f32 v188, v240, 0x3f737871, v96
	v_dual_add_f32 v211, v228, v229 :: v_dual_fmamk_f32 v132, v209, 0x3f737871, v105
	v_dual_add_f32 v89, v210, v237 :: v_dual_fmamk_f32 v176, v233, 0x3f737871, v122
	v_dual_add_f32 v210, v242, v243 :: v_dual_add_f32 v213, v245, v246
	v_dual_fmac_f32 v122, 0xbf737871, v233 :: v_dual_fmac_f32 v113, 0xbf737871, v191
	v_fmac_f32_e32 v96, 0xbf737871, v240
	v_fmamk_f32 v130, v199, 0xbf737871, v118
	v_fmac_f32_e32 v118, 0x3f737871, v199
	v_fmac_f32_e32 v105, 0xbf737871, v209
	v_fmamk_f32 v175, v223, 0xbf737871, v121
	v_dual_fmac_f32 v121, 0x3f737871, v223 :: v_dual_fmac_f32 v120, 0x3f737871, v232
	v_dual_add_f32 v215, v247, v220 :: v_dual_add_f32 v196, v133, v201
	v_fmamk_f32 v131, v195, 0xbf737871, v104
	v_dual_fmac_f32 v104, 0x3f737871, v195 :: v_dual_fmamk_f32 v133, v221, 0x3f737871, v119
	v_fmac_f32_e32 v119, 0xbf737871, v221
	v_dual_add_f32 v201, v88, v214 :: v_dual_fmac_f32 v130, 0xbf167918, v209
	v_fmamk_f32 v88, v241, 0xbf737871, v90
	v_fmac_f32_e32 v90, 0x3f737871, v241
	v_dual_fmac_f32 v125, 0x3f167918, v191 :: v_dual_fmac_f32 v118, 0x3f167918, v209
	v_dual_fmac_f32 v115, 0xbf167918, v191 :: v_dual_fmac_f32 v104, 0xbf167918, v194
	v_dual_add_f32 v193, v135, v208 :: v_dual_fmac_f32 v188, 0x3f167918, v241
	v_dual_fmamk_f32 v129, v194, 0x3f737871, v117 :: v_dual_add_f32 v190, v95, v100
	v_fmac_f32_e32 v117, 0xbf737871, v194
	v_dual_fmac_f32 v123, 0x3f167918, v192 :: v_dual_fmac_f32 v116, 0x3f167918, v94
	v_dual_fmac_f32 v113, 0xbf167918, v192 :: v_dual_fmac_f32 v126, 0xbf167918, v94
	v_dual_add_f32 v191, v97, v200 :: v_dual_fmac_f32 v132, 0xbf167918, v199
	v_dual_add_f32 v192, v98, v183 :: v_dual_fmac_f32 v131, 0x3f167918, v194
	v_fmac_f32_e32 v122, 0x3f167918, v232
	v_add_f32_e32 v194, v196, v203
	v_fmac_f32_e32 v176, 0xbf167918, v232
	v_add_f32_e32 v196, v206, v197
	v_fmac_f32_e32 v88, 0x3f167918, v240
	v_dual_fmac_f32 v125, 0x3e9e377a, v102 :: v_dual_fmac_f32 v126, 0x3e9e377a, v103
	v_dual_fmac_f32 v115, 0x3e9e377a, v102 :: v_dual_fmac_f32 v116, 0x3e9e377a, v103
	v_dual_fmac_f32 v188, 0x3e9e377a, v210 :: v_dual_sub_f32 v95, v189, v197
	v_fma_f32 v97, -0.5, v248, v91
	v_fmac_f32_e32 v90, 0xbf167918, v240
	v_dual_add_f32 v94, v218, v224 :: v_dual_fmac_f32 v105, 0x3f167918, v199
	v_sub_f32_e32 v98, v205, v207
	v_dual_fmac_f32 v119, 0xbf167918, v223 :: v_dual_sub_f32 v100, v218, v220
	v_dual_sub_f32 v102, v224, v222 :: v_dual_fmac_f32 v133, 0x3f167918, v223
	v_fmac_f32_e32 v121, 0xbf167918, v221
	v_dual_fmac_f32 v129, 0x3f167918, v195 :: v_dual_fmac_f32 v120, 0x3f167918, v233
	v_dual_fmac_f32 v117, 0xbf167918, v195 :: v_dual_fmac_f32 v134, 0xbf167918, v233
	v_fmac_f32_e32 v175, 0x3f167918, v221
	v_dual_add_f32 v195, v201, v216 :: v_dual_fmac_f32 v96, 0xbf167918, v241
	v_dual_fmac_f32 v119, 0x3e9e377a, v204 :: v_dual_fmac_f32 v122, 0x3e9e377a, v89
	v_fmac_f32_e32 v176, 0x3e9e377a, v89
	v_dual_fmac_f32 v88, 0x3e9e377a, v213 :: v_dual_add_f32 v89, v215, v222
	v_fmamk_f32 v189, v95, 0xbf737871, v97
	v_dual_fmac_f32 v90, 0x3e9e377a, v213 :: v_dual_fmac_f32 v91, -0.5, v94
	v_dual_add_f32 v100, v100, v102 :: v_dual_fmac_f32 v133, 0x3e9e377a, v204
	v_sub_f32_e32 v94, v220, v218
	v_dual_sub_f32 v102, v222, v224 :: v_dual_fmac_f32 v97, 0x3f737871, v95
	v_add_f32_e32 v103, v99, v111
	v_dual_fmac_f32 v129, 0x3e9e377a, v127 :: v_dual_fmac_f32 v130, 0x3e9e377a, v198
	v_dual_fmac_f32 v117, 0x3e9e377a, v127 :: v_dual_fmac_f32 v118, 0x3e9e377a, v198
	v_dual_fmac_f32 v96, 0x3e9e377a, v210 :: v_dual_add_f32 v197, v89, v224
	v_fmac_f32_e32 v189, 0xbf167918, v98
	v_add_f32_e32 v102, v94, v102
	v_fma_f32 v94, -0.5, v103, v92
	v_sub_f32_e32 v127, v108, v109
	v_fmac_f32_e32 v97, 0x3f167918, v98
	v_sub_f32_e32 v103, v107, v110
	v_fmamk_f32 v89, v98, 0x3f737871, v91
	v_dual_fmac_f32 v91, 0xbf737871, v98 :: v_dual_add_f32 v98, v92, v101
	v_add_f32_e32 v183, v101, v112
	v_fmac_f32_e32 v189, 0x3e9e377a, v100
	v_fmac_f32_e32 v97, 0x3e9e377a, v100
	v_fmamk_f32 v100, v103, 0x3f737871, v94
	v_fmac_f32_e32 v89, 0xbf167918, v95
	v_fmac_f32_e32 v94, 0xbf737871, v103
	v_dual_fmac_f32 v91, 0x3f167918, v95 :: v_dual_sub_f32 v198, v111, v112
	v_fma_f32 v92, -0.5, v183, v92
	v_add_f32_e32 v95, v98, v99
	v_sub_f32_e32 v98, v101, v99
	v_sub_f32_e32 v135, v112, v111
	v_fmac_f32_e32 v94, 0xbf167918, v127
	v_fmac_f32_e32 v91, 0x3e9e377a, v102
	v_add_f32_e32 v95, v95, v111
	v_sub_f32_e32 v111, v99, v111
	v_add_f32_e32 v135, v98, v135
	v_dual_fmac_f32 v123, 0x3e9e377a, v249 :: v_dual_fmac_f32 v124, 0x3e9e377a, v250
	s_delay_alu instid0(VALU_DEP_4) | instskip(NEXT) | instid1(VALU_DEP_3)
	v_dual_add_f32 v98, v95, v112 :: v_dual_fmac_f32 v89, 0x3e9e377a, v102
	v_fmac_f32_e32 v94, 0x3e9e377a, v135
	v_dual_fmamk_f32 v102, v127, 0xbf737871, v92 :: v_dual_add_f32 v95, v93, v107
	v_dual_sub_f32 v112, v101, v112 :: v_dual_fmac_f32 v131, 0x3e9e377a, v251
	v_fmac_f32_e32 v132, 0x3e9e377a, v202
	s_delay_alu instid0(VALU_DEP_3) | instskip(SKIP_3) | instid1(VALU_DEP_3)
	v_fmac_f32_e32 v102, 0x3f167918, v103
	v_fmac_f32_e32 v100, 0x3f167918, v127
	v_dual_fmac_f32 v92, 0x3f737871, v127 :: v_dual_add_f32 v127, v95, v108
	v_dual_fmac_f32 v104, 0x3e9e377a, v251 :: v_dual_fmac_f32 v105, 0x3e9e377a, v202
	v_dual_fmac_f32 v100, 0x3e9e377a, v135 :: v_dual_add_f32 v135, v108, v109
	s_delay_alu instid0(VALU_DEP_3) | instskip(NEXT) | instid1(VALU_DEP_4)
	v_dual_fmac_f32 v92, 0xbf167918, v103 :: v_dual_sub_f32 v183, v99, v101
	v_add_f32_e32 v103, v127, v109
	v_add_f32_e32 v127, v107, v110
	s_delay_alu instid0(VALU_DEP_4) | instskip(SKIP_2) | instid1(VALU_DEP_4)
	v_fma_f32 v95, -0.5, v135, v93
	v_dual_fmac_f32 v113, 0x3e9e377a, v249 :: v_dual_fmac_f32 v114, 0x3e9e377a, v250
	v_add_f32_e32 v135, v183, v198
	v_fmac_f32_e32 v93, -0.5, v127
	s_delay_alu instid0(VALU_DEP_4)
	v_fmamk_f32 v101, v112, 0xbf737871, v95
	v_sub_f32_e32 v127, v107, v108
	v_fmac_f32_e32 v95, 0x3f737871, v112
	v_fmac_f32_e32 v102, 0x3e9e377a, v135
	v_dual_fmac_f32 v92, 0x3e9e377a, v135 :: v_dual_sub_f32 v135, v110, v109
	v_add_f32_e32 v99, v103, v110
	v_fmamk_f32 v103, v111, 0x3f737871, v93
	v_dual_sub_f32 v107, v108, v107 :: v_dual_sub_f32 v108, v109, v110
	v_fmac_f32_e32 v93, 0xbf737871, v111
	v_fmac_f32_e32 v101, 0xbf167918, v111
	v_add_f32_e32 v109, v127, v135
	v_fmac_f32_e32 v95, 0x3f167918, v111
	v_fmac_f32_e32 v103, 0xbf167918, v112
	v_add_f32_e32 v107, v107, v108
	v_fmac_f32_e32 v93, 0x3f167918, v112
	v_add_nc_u32_e32 v108, 0x400, v181
	v_fmac_f32_e32 v101, 0x3e9e377a, v109
	v_fmac_f32_e32 v95, 0x3e9e377a, v109
	v_add_nc_u32_e32 v109, 0x800, v181
	v_dual_fmac_f32 v175, 0x3e9e377a, v211 :: v_dual_fmac_f32 v134, 0x3e9e377a, v212
	v_dual_fmac_f32 v121, 0x3e9e377a, v211 :: v_dual_fmac_f32 v120, 0x3e9e377a, v212
	v_fmac_f32_e32 v103, 0x3e9e377a, v107
	v_fmac_f32_e32 v93, 0x3e9e377a, v107
	ds_store_2addr_b64 v181, v[123:124], v[129:130] offset0:85 offset1:102
	ds_store_2addr_b64 v181, v[125:126], v[131:132] offset0:170 offset1:187
	;; [unrolled: 1-line block ×5, first 2 shown]
	ds_store_b64 v178, v[190:191]
	ds_store_b64 v178, v[133:134] offset:952
	ds_store_b64 v178, v[175:176] offset:1632
	;; [unrolled: 1-line block ×14, first 2 shown]
	global_wb scope:SCOPE_SE
	s_wait_dscnt 0x0
	s_barrier_signal -1
	s_barrier_wait -1
	global_inv scope:SCOPE_SE
	s_clause 0x10
	global_load_b64 v[104:105], v[136:137], off offset:3400
	global_load_b64 v[125:126], v106, s[0:1] offset:200
	global_load_b64 v[133:134], v106, s[0:1] offset:400
	;; [unrolled: 1-line block ×16, first 2 shown]
	ds_load_2addr_b64 v[107:110], v178 offset1:25
	ds_load_2addr_b64 v[113:116], v178 offset0:50 offset1:75
	ds_load_2addr_b64 v[117:120], v178 offset0:100 offset1:125
	v_add_nc_u32_e32 v112, 0x400, v178
	ds_load_2addr_b64 v[121:124], v178 offset0:150 offset1:175
	ds_load_2addr_b64 v[129:132], v178 offset0:200 offset1:225
	;; [unrolled: 1-line block ×5, first 2 shown]
	ds_load_b64 v[226:227], v178 offset:3200
	s_wait_loadcnt_dscnt 0x1008
	v_mul_f32_e32 v135, v108, v105
	s_wait_loadcnt 0xf
	v_dual_mul_f32 v127, v107, v105 :: v_dual_mul_f32 v228, v110, v126
	v_mul_f32_e32 v105, v109, v126
	s_wait_loadcnt_dscnt 0xe07
	v_mul_f32_e32 v229, v114, v134
	s_wait_loadcnt 0xd
	v_dual_mul_f32 v111, v113, v134 :: v_dual_mul_f32 v230, v116, v176
	s_wait_loadcnt_dscnt 0xc06
	v_dual_mul_f32 v134, v115, v176 :: v_dual_mul_f32 v231, v118, v201
	v_mul_f32_e32 v176, v117, v201
	s_wait_loadcnt 0xb
	v_mul_f32_e32 v232, v120, v203
	v_mul_f32_e32 v201, v119, v203
	s_wait_loadcnt_dscnt 0xa05
	v_mul_f32_e32 v233, v122, v205
	s_wait_loadcnt 0x9
	v_dual_mul_f32 v203, v121, v205 :: v_dual_mul_f32 v234, v124, v207
	v_mul_f32_e32 v205, v123, v207
	s_wait_loadcnt_dscnt 0x804
	v_mul_f32_e32 v235, v130, v209
	s_wait_loadcnt 0x7
	v_dual_mul_f32 v207, v129, v209 :: v_dual_mul_f32 v236, v132, v211
	;; [unrolled: 5-line block ×5, first 2 shown]
	v_mul_f32_e32 v221, v198, v223
	s_wait_loadcnt_dscnt 0x0
	v_mul_f32_e32 v243, v227, v225
	v_mul_f32_e32 v223, v226, v225
	v_fma_f32 v126, v107, v104, -v135
	v_fmac_f32_e32 v127, v108, v104
	v_fma_f32 v104, v109, v125, -v228
	v_fmac_f32_e32 v105, v110, v125
	;; [unrolled: 2-line block ×17, first 2 shown]
	ds_store_2addr_b64 v178, v[126:127], v[104:105] offset1:25
	ds_store_2addr_b64 v178, v[110:111], v[133:134] offset0:50 offset1:75
	ds_store_2addr_b64 v178, v[175:176], v[200:201] offset0:100 offset1:125
	;; [unrolled: 1-line block ×7, first 2 shown]
	ds_store_b64 v178, v[222:223] offset:3200
	s_and_saveexec_b32 s2, vcc_lo
	s_cbranch_execz .LBB0_9
; %bb.8:
	s_wait_alu 0xfffe
	v_add_co_u32 v104, s0, s0, v106
	s_wait_alu 0xf1ff
	v_add_co_ci_u32_e64 v105, null, s1, 0, s0
	s_clause 0x10
	global_load_b64 v[106:107], v[104:105], off offset:136
	global_load_b64 v[125:126], v[104:105], off offset:336
	;; [unrolled: 1-line block ×17, first 2 shown]
	ds_load_b64 v[104:105], v181 offset:136
	s_wait_loadcnt_dscnt 0x1000
	v_mul_f32_e32 v109, v105, v107
	v_mul_f32_e32 v108, v104, v107
	s_delay_alu instid0(VALU_DEP_2) | instskip(NEXT) | instid1(VALU_DEP_2)
	v_fma_f32 v107, v104, v106, -v109
	v_fmac_f32_e32 v108, v105, v106
	ds_store_b64 v181, v[107:108] offset:136
	ds_load_2addr_b64 v[104:107], v178 offset0:42 offset1:67
	ds_load_2addr_b64 v[108:111], v178 offset0:92 offset1:117
	;; [unrolled: 1-line block ×8, first 2 shown]
	s_wait_loadcnt_dscnt 0xf07
	v_mul_f32_e32 v223, v105, v126
	s_wait_loadcnt_dscnt 0xc06
	v_dual_mul_f32 v127, v104, v126 :: v_dual_mul_f32 v226, v111, v197
	v_mul_f32_e32 v224, v107, v134
	v_dual_mul_f32 v135, v106, v134 :: v_dual_mul_f32 v222, v108, v176
	v_dual_mul_f32 v225, v109, v176 :: v_dual_mul_f32 v176, v110, v197
	s_wait_loadcnt_dscnt 0xb05
	v_mul_f32_e32 v227, v114, v199
	s_wait_loadcnt 0xa
	v_dual_mul_f32 v197, v113, v199 :: v_dual_mul_f32 v228, v116, v201
	v_dual_mul_f32 v199, v115, v201 :: v_dual_fmac_f32 v222, v109, v175
	s_wait_loadcnt_dscnt 0x804
	v_dual_mul_f32 v229, v118, v203 :: v_dual_mul_f32 v230, v120, v205
	s_wait_loadcnt_dscnt 0x603
	v_dual_mul_f32 v201, v117, v203 :: v_dual_mul_f32 v232, v124, v209
	v_mul_f32_e32 v203, v119, v205
	s_wait_loadcnt_dscnt 0x402
	v_dual_mul_f32 v231, v122, v207 :: v_dual_mul_f32 v234, v132, v213
	s_wait_loadcnt_dscnt 0x201
	v_dual_mul_f32 v205, v121, v207 :: v_dual_mul_f32 v236, v191, v217
	v_mul_f32_e32 v207, v123, v209
	s_wait_loadcnt_dscnt 0x0
	v_dual_mul_f32 v233, v130, v211 :: v_dual_mul_f32 v238, v195, v221
	v_dual_mul_f32 v209, v129, v211 :: v_dual_fmac_f32 v176, v111, v196
	v_mul_f32_e32 v211, v131, v213
	v_mul_f32_e32 v235, v189, v215
	;; [unrolled: 1-line block ×7, first 2 shown]
	v_fma_f32 v126, v104, v125, -v223
	v_fmac_f32_e32 v127, v105, v125
	v_fma_f32 v134, v106, v133, -v224
	v_fmac_f32_e32 v135, v107, v133
	v_fma_f32 v221, v108, v175, -v225
	v_fma_f32 v175, v110, v196, -v226
	;; [unrolled: 1-line block ×3, first 2 shown]
	v_fmac_f32_e32 v197, v114, v198
	v_fma_f32 v198, v115, v200, -v228
	v_fmac_f32_e32 v199, v116, v200
	v_fma_f32 v200, v117, v202, -v229
	;; [unrolled: 2-line block ×11, first 2 shown]
	v_fmac_f32_e32 v219, v195, v220
	ds_store_2addr_b64 v178, v[126:127], v[134:135] offset0:42 offset1:67
	ds_store_2addr_b64 v178, v[221:222], v[175:176] offset0:92 offset1:117
	;; [unrolled: 1-line block ×8, first 2 shown]
.LBB0_9:
	s_wait_alu 0xfffe
	s_or_b32 exec_lo, exec_lo, s2
	global_wb scope:SCOPE_SE
	s_wait_dscnt 0x0
	s_barrier_signal -1
	s_barrier_wait -1
	global_inv scope:SCOPE_SE
	ds_load_2addr_b64 v[132:135], v178 offset1:25
	ds_load_2addr_b64 v[124:127], v178 offset0:50 offset1:75
	ds_load_2addr_b64 v[116:119], v178 offset0:100 offset1:125
	;; [unrolled: 1-line block ×7, first 2 shown]
	ds_load_b64 v[175:176], v178 offset:3200
	s_and_saveexec_b32 s0, vcc_lo
	s_cbranch_execz .LBB0_11
; %bb.10:
	v_add_nc_u32_e32 v4, 0x800, v181
	ds_load_2addr_b64 v[88:91], v181 offset0:17 offset1:42
	ds_load_2addr_b64 v[96:99], v181 offset0:67 offset1:92
	;; [unrolled: 1-line block ×8, first 2 shown]
	ds_load_b64 v[173:174], v181 offset:3336
.LBB0_11:
	s_wait_alu 0xfffe
	s_or_b32 exec_lo, exec_lo, s0
	s_wait_dscnt 0x0
	v_dual_add_f32 v189, v132, v134 :: v_dual_sub_f32 v194, v135, v176
	v_dual_add_f32 v191, v133, v135 :: v_dual_add_nc_u32 v188, 0x110, v178
	s_delay_alu instid0(VALU_DEP_2) | instskip(SKIP_1) | instid1(VALU_DEP_3)
	v_dual_add_f32 v192, v189, v124 :: v_dual_add_nc_u32 v183, 0x198, v178
	v_dual_sub_f32 v196, v134, v175 :: v_dual_add_nc_u32 v187, 0x220, v178
	v_add_f32_e32 v191, v191, v125
	v_add_f32_e32 v195, v176, v135
	s_delay_alu instid0(VALU_DEP_4) | instskip(SKIP_1) | instid1(VALU_DEP_4)
	v_add_f32_e32 v192, v192, v126
	v_add_f32_e32 v193, v175, v134
	v_dual_mul_f32 v134, 0xbeb8f4ab, v194 :: v_dual_add_f32 v191, v191, v127
	global_wb scope:SCOPE_SE
	v_dual_add_f32 v135, v192, v116 :: v_dual_mul_f32 v192, 0x3f6eb680, v195
	v_fmamk_f32 v204, v193, 0x3f6eb680, v134
	v_mul_f32_e32 v198, 0x3f3d2fb0, v195
	v_mul_f32_e32 v197, 0xbf2c7751, v194
	s_delay_alu instid0(VALU_DEP_4) | instskip(SKIP_1) | instid1(VALU_DEP_4)
	v_dual_add_f32 v135, v135, v118 :: v_dual_mul_f32 v202, 0x3dbcf732, v195
	v_dual_add_f32 v191, v191, v117 :: v_dual_mul_f32 v200, 0x3ee437d1, v195
	v_fmamk_f32 v207, v196, 0x3f2c7751, v198
	v_fmac_f32_e32 v198, 0xbf2c7751, v196
	s_delay_alu instid0(VALU_DEP_4) | instskip(SKIP_2) | instid1(VALU_DEP_3)
	v_dual_add_f32 v135, v135, v108 :: v_dual_fmamk_f32 v206, v193, 0x3f3d2fb0, v197
	v_dual_mul_f32 v201, 0xbf7ee86f, v194 :: v_dual_add_f32 v204, v132, v204
	v_mul_f32_e32 v199, 0xbf65296c, v194
	v_add_f32_e32 v135, v135, v110
	v_fmamk_f32 v209, v196, 0x3f65296c, v200
	v_fmac_f32_e32 v200, 0xbf65296c, v196
	v_fmamk_f32 v210, v193, 0x3dbcf732, v201
	s_delay_alu instid0(VALU_DEP_4) | instskip(NEXT) | instid1(VALU_DEP_3)
	v_dual_add_f32 v198, v133, v198 :: v_dual_add_f32 v135, v135, v104
	v_dual_add_f32 v191, v191, v119 :: v_dual_add_f32 v200, v133, v200
	v_fmamk_f32 v211, v196, 0x3f7ee86f, v202
	v_fma_f32 v134, 0x3f6eb680, v193, -v134
	s_delay_alu instid0(VALU_DEP_4)
	v_add_f32_e32 v135, v135, v106
	v_fma_f32 v197, 0x3f3d2fb0, v193, -v197
	v_fma_f32 v201, 0x3dbcf732, v193, -v201
	s_barrier_signal -1
	s_barrier_wait -1
	v_add_f32_e32 v135, v135, v112
	global_inv scope:SCOPE_SE
	v_fmamk_f32 v208, v193, 0x3ee437d1, v199
	v_fma_f32 v199, 0x3ee437d1, v193, -v199
	v_add_f32_e32 v212, v132, v134
	v_dual_add_f32 v135, v135, v114 :: v_dual_mul_f32 v214, 0xbf1a4643, v195
	v_mul_f32_e32 v217, 0xbf06c442, v194
	v_fmac_f32_e32 v202, 0xbf7ee86f, v196
	s_delay_alu instid0(VALU_DEP_3) | instskip(SKIP_2) | instid1(VALU_DEP_4)
	v_dual_mul_f32 v218, 0xbf59a7d5, v195 :: v_dual_add_f32 v135, v135, v120
	v_fmamk_f32 v205, v196, 0x3eb8f4ab, v192
	v_dual_fmac_f32 v192, 0xbeb8f4ab, v196 :: v_dual_add_f32 v191, v191, v109
	v_add_f32_e32 v202, v133, v202
	s_delay_alu instid0(VALU_DEP_3) | instskip(NEXT) | instid1(VALU_DEP_3)
	v_dual_add_f32 v134, v135, v122 :: v_dual_add_f32 v205, v133, v205
	v_dual_fmamk_f32 v216, v196, 0x3f4c4adb, v214 :: v_dual_add_f32 v191, v191, v111
	v_fmac_f32_e32 v214, 0xbf4c4adb, v196
	s_delay_alu instid0(VALU_DEP_3) | instskip(NEXT) | instid1(VALU_DEP_3)
	v_dual_add_f32 v134, v134, v128 :: v_dual_mul_f32 v203, 0xbf763a35, v194
	v_dual_add_f32 v192, v133, v192 :: v_dual_add_f32 v191, v191, v105
	s_delay_alu instid0(VALU_DEP_2) | instskip(NEXT) | instid1(VALU_DEP_4)
	v_dual_fmamk_f32 v219, v193, 0xbf59a7d5, v217 :: v_dual_add_f32 v134, v134, v130
	v_add_f32_e32 v214, v133, v214
	v_fma_f32 v217, 0xbf59a7d5, v193, -v217
	s_delay_alu instid0(VALU_DEP_4) | instskip(SKIP_2) | instid1(VALU_DEP_3)
	v_add_f32_e32 v191, v191, v107
	v_dual_add_f32 v197, v132, v197 :: v_dual_add_f32 v216, v133, v216
	v_dual_add_f32 v134, v134, v175 :: v_dual_fmamk_f32 v175, v193, 0xbe8c1d8e, v203
	v_add_f32_e32 v191, v191, v113
	v_fma_f32 v203, 0xbe8c1d8e, v193, -v203
	v_add_f32_e32 v199, v132, v199
	v_fmamk_f32 v220, v196, 0x3f06c442, v218
	s_delay_alu instid0(VALU_DEP_4) | instskip(SKIP_3) | instid1(VALU_DEP_4)
	v_dual_fmac_f32 v218, 0xbf06c442, v196 :: v_dual_add_f32 v191, v191, v115
	v_dual_add_f32 v201, v132, v201 :: v_dual_sub_f32 v222, v125, v131
	v_add_f32_e32 v125, v131, v125
	v_add_f32_e32 v203, v132, v203
	v_dual_add_f32 v191, v191, v121 :: v_dual_add_f32 v220, v133, v220
	v_add_f32_e32 v218, v133, v218
	s_delay_alu instid0(VALU_DEP_2) | instskip(SKIP_2) | instid1(VALU_DEP_3)
	v_dual_mul_f32 v224, 0xbf1a4643, v125 :: v_dual_add_f32 v135, v191, v123
	v_dual_add_f32 v191, v132, v206 :: v_dual_add_f32 v206, v133, v207
	v_dual_add_f32 v207, v132, v208 :: v_dual_add_f32 v208, v133, v209
	v_add_f32_e32 v135, v135, v129
	v_dual_add_f32 v209, v132, v210 :: v_dual_mul_f32 v210, 0xbe8c1d8e, v195
	v_mul_f32_e32 v195, 0xbf7ba420, v195
	s_delay_alu instid0(VALU_DEP_3) | instskip(SKIP_1) | instid1(VALU_DEP_3)
	v_add_f32_e32 v135, v135, v131
	v_dual_add_f32 v131, v130, v124 :: v_dual_sub_f32 v124, v124, v130
	v_fmamk_f32 v223, v196, 0x3e3c28d5, v195
	v_fmamk_f32 v213, v196, 0x3f763a35, v210
	s_delay_alu instid0(VALU_DEP_4) | instskip(SKIP_3) | instid1(VALU_DEP_3)
	v_add_f32_e32 v135, v135, v176
	v_fmac_f32_e32 v210, 0xbf763a35, v196
	v_dual_mul_f32 v130, 0x3f3d2fb0, v125 :: v_dual_add_f32 v175, v132, v175
	v_add_f32_e32 v219, v132, v219
	v_dual_add_f32 v217, v132, v217 :: v_dual_add_f32 v210, v133, v210
	v_dual_add_f32 v176, v133, v211 :: v_dual_mul_f32 v211, 0xbf4c4adb, v194
	v_dual_mul_f32 v194, 0xbe3c28d5, v194 :: v_dual_fmac_f32 v195, 0xbe3c28d5, v196
	v_add_f32_e32 v196, v133, v223
	s_delay_alu instid0(VALU_DEP_3) | instskip(SKIP_1) | instid1(VALU_DEP_4)
	v_fmamk_f32 v215, v193, 0xbf1a4643, v211
	v_fma_f32 v211, 0xbf1a4643, v193, -v211
	v_fmamk_f32 v221, v193, 0xbf7ba420, v194
	v_fma_f32 v193, 0xbf7ba420, v193, -v194
	s_delay_alu instid0(VALU_DEP_4) | instskip(NEXT) | instid1(VALU_DEP_4)
	v_dual_mul_f32 v194, 0xbf2c7751, v222 :: v_dual_add_f32 v215, v132, v215
	v_add_f32_e32 v211, v132, v211
	s_delay_alu instid0(VALU_DEP_4) | instskip(NEXT) | instid1(VALU_DEP_4)
	v_add_f32_e32 v221, v132, v221
	v_add_f32_e32 v132, v132, v193
	v_fmamk_f32 v193, v124, 0x3f2c7751, v130
	v_fmac_f32_e32 v130, 0xbf2c7751, v124
	v_fmamk_f32 v223, v131, 0x3f3d2fb0, v194
	v_fma_f32 v194, 0x3f3d2fb0, v131, -v194
	v_add_f32_e32 v213, v133, v213
	s_delay_alu instid0(VALU_DEP_4) | instskip(SKIP_1) | instid1(VALU_DEP_4)
	v_dual_add_f32 v193, v193, v205 :: v_dual_add_f32 v130, v130, v192
	v_mul_f32_e32 v192, 0xbf4c4adb, v222
	v_add_f32_e32 v194, v194, v212
	v_dual_add_f32 v204, v223, v204 :: v_dual_mul_f32 v223, 0x3dbcf732, v125
	s_delay_alu instid0(VALU_DEP_3) | instskip(SKIP_1) | instid1(VALU_DEP_1)
	v_fmamk_f32 v212, v131, 0xbf1a4643, v192
	v_fma_f32 v192, 0xbf1a4643, v131, -v192
	v_add_f32_e32 v192, v192, v199
	v_add_f32_e32 v133, v133, v195
	v_mul_f32_e32 v195, 0xbf7ee86f, v222
	s_delay_alu instid0(VALU_DEP_1) | instskip(SKIP_1) | instid1(VALU_DEP_2)
	v_fmamk_f32 v205, v131, 0x3dbcf732, v195
	v_fma_f32 v195, 0x3dbcf732, v131, -v195
	v_add_f32_e32 v191, v205, v191
	v_fmamk_f32 v205, v124, 0x3f7ee86f, v223
	v_fmac_f32_e32 v223, 0xbf7ee86f, v124
	s_delay_alu instid0(VALU_DEP_4) | instskip(NEXT) | instid1(VALU_DEP_2)
	v_add_f32_e32 v195, v195, v197
	v_dual_add_f32 v197, v223, v198 :: v_dual_add_f32 v198, v212, v207
	v_mul_f32_e32 v223, 0x3f06c442, v222
	v_dual_add_f32 v205, v205, v206 :: v_dual_fmamk_f32 v206, v124, 0x3f4c4adb, v224
	v_fmac_f32_e32 v224, 0xbf4c4adb, v124
	v_mul_f32_e32 v212, 0xbf7ba420, v125
	s_delay_alu instid0(VALU_DEP_3) | instskip(NEXT) | instid1(VALU_DEP_3)
	v_dual_mul_f32 v207, 0xbe3c28d5, v222 :: v_dual_add_f32 v206, v206, v208
	v_add_f32_e32 v199, v224, v200
	s_delay_alu instid0(VALU_DEP_3) | instskip(SKIP_1) | instid1(VALU_DEP_4)
	v_fmamk_f32 v200, v124, 0x3e3c28d5, v212
	v_fmac_f32_e32 v212, 0xbe3c28d5, v124
	v_fmamk_f32 v208, v131, 0xbf7ba420, v207
	v_mul_f32_e32 v224, 0xbe8c1d8e, v125
	s_delay_alu instid0(VALU_DEP_4) | instskip(SKIP_4) | instid1(VALU_DEP_4)
	v_add_f32_e32 v176, v200, v176
	v_fmamk_f32 v200, v131, 0xbf59a7d5, v223
	v_add_f32_e32 v202, v212, v202
	v_fma_f32 v212, 0xbf59a7d5, v131, -v223
	v_add_f32_e32 v208, v208, v209
	v_add_f32_e32 v175, v200, v175
	s_delay_alu instid0(VALU_DEP_3) | instskip(SKIP_2) | instid1(VALU_DEP_2)
	v_add_f32_e32 v203, v212, v203
	v_fmamk_f32 v212, v124, 0xbf763a35, v224
	v_fmac_f32_e32 v224, 0x3f763a35, v124
	v_dual_mul_f32 v209, 0xbf59a7d5, v125 :: v_dual_add_f32 v212, v212, v216
	s_delay_alu instid0(VALU_DEP_2) | instskip(NEXT) | instid1(VALU_DEP_2)
	v_add_f32_e32 v214, v224, v214
	v_fmamk_f32 v200, v124, 0xbf06c442, v209
	s_delay_alu instid0(VALU_DEP_1) | instskip(SKIP_1) | instid1(VALU_DEP_1)
	v_dual_fmac_f32 v209, 0x3f06c442, v124 :: v_dual_add_f32 v200, v200, v213
	v_mul_f32_e32 v213, 0x3f65296c, v222
	v_dual_add_f32 v209, v209, v210 :: v_dual_fmamk_f32 v216, v131, 0x3ee437d1, v213
	v_fma_f32 v213, 0x3ee437d1, v131, -v213
	s_delay_alu instid0(VALU_DEP_2) | instskip(SKIP_1) | instid1(VALU_DEP_3)
	v_add_f32_e32 v216, v216, v219
	v_fma_f32 v207, 0xbf7ba420, v131, -v207
	v_add_f32_e32 v213, v213, v217
	v_sub_f32_e32 v217, v127, v129
	v_add_f32_e32 v127, v129, v127
	s_delay_alu instid0(VALU_DEP_4) | instskip(SKIP_2) | instid1(VALU_DEP_2)
	v_add_f32_e32 v201, v207, v201
	v_mul_f32_e32 v207, 0x3f763a35, v222
	v_mul_f32_e32 v222, 0x3eb8f4ab, v222
	v_fmamk_f32 v223, v131, 0xbe8c1d8e, v207
	v_fma_f32 v207, 0xbe8c1d8e, v131, -v207
	s_delay_alu instid0(VALU_DEP_3) | instskip(SKIP_1) | instid1(VALU_DEP_4)
	v_fmamk_f32 v219, v131, 0x3f6eb680, v222
	v_fma_f32 v129, 0x3f6eb680, v131, -v222
	v_dual_add_f32 v210, v223, v215 :: v_dual_mul_f32 v215, 0x3ee437d1, v125
	s_delay_alu instid0(VALU_DEP_4) | instskip(SKIP_1) | instid1(VALU_DEP_3)
	v_add_f32_e32 v207, v207, v211
	v_mul_f32_e32 v125, 0x3f6eb680, v125
	v_fmamk_f32 v211, v124, 0xbf65296c, v215
	v_fmac_f32_e32 v215, 0x3f65296c, v124
	s_delay_alu instid0(VALU_DEP_2) | instskip(NEXT) | instid1(VALU_DEP_2)
	v_add_f32_e32 v211, v211, v220
	v_add_f32_e32 v215, v215, v218
	;; [unrolled: 1-line block ×3, first 2 shown]
	v_dual_add_f32 v220, v128, v126 :: v_dual_mul_f32 v221, 0xbf65296c, v217
	v_fmamk_f32 v219, v124, 0xbeb8f4ab, v125
	v_fmac_f32_e32 v125, 0x3eb8f4ab, v124
	v_sub_f32_e32 v124, v126, v128
	v_mul_f32_e32 v128, 0x3ee437d1, v127
	v_dual_fmamk_f32 v126, v220, 0x3ee437d1, v221 :: v_dual_add_f32 v129, v129, v132
	s_delay_alu instid0(VALU_DEP_2) | instskip(NEXT) | instid1(VALU_DEP_2)
	v_dual_add_f32 v125, v125, v133 :: v_dual_fmamk_f32 v132, v124, 0x3f65296c, v128
	v_add_f32_e32 v126, v126, v204
	v_fmac_f32_e32 v128, 0xbf65296c, v124
	v_mul_f32_e32 v204, 0xbf1a4643, v127
	s_delay_alu instid0(VALU_DEP_4) | instskip(NEXT) | instid1(VALU_DEP_3)
	v_add_f32_e32 v132, v132, v193
	v_add_f32_e32 v128, v128, v130
	s_delay_alu instid0(VALU_DEP_3) | instskip(SKIP_1) | instid1(VALU_DEP_2)
	v_fmamk_f32 v130, v124, 0x3f4c4adb, v204
	v_dual_fmac_f32 v204, 0xbf4c4adb, v124 :: v_dual_mul_f32 v133, 0xbf4c4adb, v217
	v_dual_add_f32 v130, v130, v205 :: v_dual_mul_f32 v205, 0xbf7ba420, v127
	s_delay_alu instid0(VALU_DEP_2) | instskip(SKIP_1) | instid1(VALU_DEP_2)
	v_fmamk_f32 v193, v220, 0xbf1a4643, v133
	v_fma_f32 v133, 0xbf1a4643, v220, -v133
	v_add_f32_e32 v191, v193, v191
	s_delay_alu instid0(VALU_DEP_2) | instskip(SKIP_4) | instid1(VALU_DEP_3)
	v_add_f32_e32 v133, v133, v195
	v_add_f32_e32 v195, v204, v197
	v_mul_f32_e32 v197, 0x3f763a35, v217
	v_add_f32_e32 v131, v219, v196
	v_fma_f32 v196, 0x3ee437d1, v220, -v221
	v_fmamk_f32 v204, v220, 0xbe8c1d8e, v197
	v_fma_f32 v197, 0xbe8c1d8e, v220, -v197
	s_delay_alu instid0(VALU_DEP_3) | instskip(SKIP_1) | instid1(VALU_DEP_1)
	v_add_f32_e32 v194, v196, v194
	v_mul_f32_e32 v196, 0x3e3c28d5, v217
	v_fmamk_f32 v193, v220, 0xbf7ba420, v196
	v_fma_f32 v196, 0xbf7ba420, v220, -v196
	s_delay_alu instid0(VALU_DEP_2) | instskip(SKIP_1) | instid1(VALU_DEP_3)
	v_dual_add_f32 v193, v193, v198 :: v_dual_fmamk_f32 v198, v124, 0xbe3c28d5, v205
	v_fmac_f32_e32 v205, 0x3e3c28d5, v124
	v_dual_mul_f32 v219, 0xbe8c1d8e, v127 :: v_dual_add_f32 v192, v196, v192
	s_delay_alu instid0(VALU_DEP_3) | instskip(NEXT) | instid1(VALU_DEP_3)
	v_add_f32_e32 v198, v198, v206
	v_dual_add_f32 v196, v205, v199 :: v_dual_add_f32 v199, v204, v208
	s_delay_alu instid0(VALU_DEP_3) | instskip(SKIP_3) | instid1(VALU_DEP_4)
	v_fmamk_f32 v204, v124, 0xbf763a35, v219
	v_mul_f32_e32 v205, 0x3f2c7751, v217
	v_mul_f32_e32 v206, 0x3f3d2fb0, v127
	;; [unrolled: 1-line block ×3, first 2 shown]
	v_dual_add_f32 v197, v197, v201 :: v_dual_add_f32 v176, v204, v176
	s_delay_alu instid0(VALU_DEP_4) | instskip(SKIP_1) | instid1(VALU_DEP_2)
	v_fmamk_f32 v204, v220, 0x3f3d2fb0, v205
	v_fmac_f32_e32 v219, 0x3f763a35, v124
	v_add_f32_e32 v175, v204, v175
	s_delay_alu instid0(VALU_DEP_2) | instskip(SKIP_3) | instid1(VALU_DEP_4)
	v_dual_add_f32 v201, v219, v202 :: v_dual_fmamk_f32 v202, v124, 0xbf2c7751, v206
	v_fma_f32 v204, 0x3f3d2fb0, v220, -v205
	v_fmac_f32_e32 v206, 0x3f2c7751, v124
	v_mul_f32_e32 v205, 0x3f6eb680, v127
	v_dual_mul_f32 v219, 0x3dbcf732, v127 :: v_dual_add_f32 v200, v202, v200
	v_fmamk_f32 v202, v220, 0x3f6eb680, v208
	s_delay_alu instid0(VALU_DEP_4)
	v_dual_add_f32 v203, v204, v203 :: v_dual_add_f32 v204, v206, v209
	v_mul_f32_e32 v206, 0xbf7ee86f, v217
	v_fmamk_f32 v209, v124, 0x3eb8f4ab, v205
	v_fmac_f32_e32 v205, 0xbeb8f4ab, v124
	v_dual_mul_f32 v127, 0xbf59a7d5, v127 :: v_dual_add_f32 v202, v202, v210
	v_fma_f32 v208, 0x3f6eb680, v220, -v208
	s_delay_alu instid0(VALU_DEP_3) | instskip(NEXT) | instid1(VALU_DEP_3)
	v_dual_fmamk_f32 v210, v220, 0x3dbcf732, v206 :: v_dual_add_f32 v205, v205, v214
	v_dual_fmamk_f32 v214, v124, 0x3f06c442, v127 :: v_dual_add_f32 v209, v209, v212
	v_fma_f32 v206, 0x3dbcf732, v220, -v206
	s_delay_alu instid0(VALU_DEP_2)
	v_dual_mul_f32 v212, 0xbf06c442, v217 :: v_dual_add_f32 v131, v214, v131
	v_add_f32_e32 v214, v122, v116
	v_sub_f32_e32 v116, v116, v122
	v_dual_add_f32 v207, v208, v207 :: v_dual_add_f32 v208, v210, v216
	v_fmamk_f32 v210, v124, 0x3f7ee86f, v219
	v_dual_fmac_f32 v219, 0xbf7ee86f, v124 :: v_dual_add_f32 v206, v206, v213
	s_delay_alu instid0(VALU_DEP_2) | instskip(NEXT) | instid1(VALU_DEP_2)
	v_add_f32_e32 v210, v210, v211
	v_add_f32_e32 v213, v219, v215
	v_sub_f32_e32 v215, v117, v123
	v_add_f32_e32 v117, v123, v117
	v_fmamk_f32 v211, v220, 0xbf59a7d5, v212
	v_fma_f32 v212, 0xbf59a7d5, v220, -v212
	s_delay_alu instid0(VALU_DEP_4) | instskip(NEXT) | instid1(VALU_DEP_4)
	v_mul_f32_e32 v123, 0xbf7ee86f, v215
	v_mul_f32_e32 v122, 0x3dbcf732, v117
	s_delay_alu instid0(VALU_DEP_3) | instskip(NEXT) | instid1(VALU_DEP_2)
	v_add_f32_e32 v129, v212, v129
	v_fmamk_f32 v212, v116, 0x3f7ee86f, v122
	v_fmac_f32_e32 v122, 0xbf7ee86f, v116
	s_delay_alu instid0(VALU_DEP_2) | instskip(NEXT) | instid1(VALU_DEP_2)
	v_add_f32_e32 v132, v212, v132
	v_add_f32_e32 v122, v122, v128
	v_mul_f32_e32 v128, 0x3f763a35, v215
	v_mul_f32_e32 v212, 0xbf7ba420, v117
	s_delay_alu instid0(VALU_DEP_2) | instskip(SKIP_1) | instid1(VALU_DEP_1)
	v_fmamk_f32 v216, v214, 0xbe8c1d8e, v128
	v_fma_f32 v128, 0xbe8c1d8e, v214, -v128
	v_add_f32_e32 v128, v128, v192
	v_fmac_f32_e32 v127, 0xbf06c442, v124
	v_fmamk_f32 v124, v214, 0x3dbcf732, v123
	v_fma_f32 v123, 0x3dbcf732, v214, -v123
	s_delay_alu instid0(VALU_DEP_2) | instskip(NEXT) | instid1(VALU_DEP_2)
	v_add_f32_e32 v124, v124, v126
	v_dual_add_f32 v123, v123, v194 :: v_dual_mul_f32 v194, 0xbe8c1d8e, v117
	v_add_f32_e32 v125, v127, v125
	v_mul_f32_e32 v127, 0xbe3c28d5, v215
	s_delay_alu instid0(VALU_DEP_1) | instskip(SKIP_1) | instid1(VALU_DEP_2)
	v_fmamk_f32 v126, v214, 0xbf7ba420, v127
	v_fma_f32 v127, 0xbf7ba420, v214, -v127
	v_dual_add_f32 v193, v216, v193 :: v_dual_add_f32 v126, v126, v191
	v_fmamk_f32 v191, v116, 0x3e3c28d5, v212
	s_delay_alu instid0(VALU_DEP_3) | instskip(NEXT) | instid1(VALU_DEP_2)
	v_dual_fmac_f32 v212, 0xbe3c28d5, v116 :: v_dual_add_f32 v127, v127, v133
	v_dual_add_f32 v130, v191, v130 :: v_dual_fmamk_f32 v191, v116, 0xbf763a35, v194
	s_delay_alu instid0(VALU_DEP_2) | instskip(NEXT) | instid1(VALU_DEP_1)
	v_dual_fmac_f32 v194, 0x3f763a35, v116 :: v_dual_add_f32 v133, v212, v195
	v_dual_add_f32 v191, v191, v198 :: v_dual_add_f32 v192, v194, v196
	v_dual_add_f32 v211, v211, v218 :: v_dual_mul_f32 v198, 0x3f6eb680, v117
	v_mul_f32_e32 v195, 0x3eb8f4ab, v215
	v_mul_f32_e32 v194, 0xbf65296c, v215
	s_delay_alu instid0(VALU_DEP_3) | instskip(SKIP_1) | instid1(VALU_DEP_4)
	v_fmamk_f32 v196, v116, 0xbeb8f4ab, v198
	v_fmac_f32_e32 v198, 0x3eb8f4ab, v116
	v_fmamk_f32 v212, v214, 0x3f6eb680, v195
	v_fma_f32 v195, 0x3f6eb680, v214, -v195
	s_delay_alu instid0(VALU_DEP_4) | instskip(NEXT) | instid1(VALU_DEP_3)
	v_add_f32_e32 v176, v196, v176
	v_dual_add_f32 v199, v212, v199 :: v_dual_fmamk_f32 v212, v214, 0x3ee437d1, v194
	v_mul_f32_e32 v196, 0x3ee437d1, v117
	v_fma_f32 v194, 0x3ee437d1, v214, -v194
	s_delay_alu instid0(VALU_DEP_3)
	v_add_f32_e32 v175, v212, v175
	v_add_f32_e32 v195, v195, v197
	v_dual_add_f32 v197, v198, v201 :: v_dual_mul_f32 v198, 0xbf06c442, v215
	v_fmamk_f32 v201, v116, 0x3f65296c, v196
	v_mul_f32_e32 v212, 0xbf59a7d5, v117
	v_fmac_f32_e32 v196, 0xbf65296c, v116
	v_add_f32_e32 v194, v194, v203
	s_delay_alu instid0(VALU_DEP_4) | instskip(NEXT) | instid1(VALU_DEP_4)
	v_dual_mul_f32 v203, 0x3f4c4adb, v215 :: v_dual_add_f32 v200, v201, v200
	v_fmamk_f32 v201, v116, 0x3f06c442, v212
	v_fmamk_f32 v216, v214, 0xbf59a7d5, v198
	v_fma_f32 v198, 0xbf59a7d5, v214, -v198
	v_add_f32_e32 v196, v196, v204
	v_mul_f32_e32 v204, 0xbf1a4643, v117
	v_add_f32_e32 v201, v201, v209
	v_dual_fmamk_f32 v209, v214, 0xbf1a4643, v203 :: v_dual_add_f32 v202, v216, v202
	v_add_f32_e32 v198, v198, v207
	v_mul_f32_e32 v207, 0x3f2c7751, v215
	v_fma_f32 v203, 0xbf1a4643, v214, -v203
	s_delay_alu instid0(VALU_DEP_4) | instskip(NEXT) | instid1(VALU_DEP_3)
	v_dual_add_f32 v208, v209, v208 :: v_dual_mul_f32 v117, 0x3f3d2fb0, v117
	v_fmamk_f32 v209, v214, 0x3f3d2fb0, v207
	s_delay_alu instid0(VALU_DEP_3) | instskip(NEXT) | instid1(VALU_DEP_2)
	v_dual_add_f32 v203, v203, v206 :: v_dual_fmac_f32 v212, 0xbf06c442, v116
	v_dual_add_f32 v206, v209, v211 :: v_dual_sub_f32 v209, v119, v121
	s_delay_alu instid0(VALU_DEP_2) | instskip(SKIP_3) | instid1(VALU_DEP_3)
	v_add_f32_e32 v205, v212, v205
	v_dual_fmamk_f32 v212, v116, 0xbf4c4adb, v204 :: v_dual_add_f32 v119, v121, v119
	v_fmamk_f32 v211, v116, 0xbf2c7751, v117
	v_dual_add_f32 v121, v120, v118 :: v_dual_fmac_f32 v204, 0x3f4c4adb, v116
	v_add_f32_e32 v210, v212, v210
	v_mul_f32_e32 v212, 0xbf763a35, v209
	v_fmac_f32_e32 v117, 0x3f2c7751, v116
	v_sub_f32_e32 v116, v118, v120
	v_mul_f32_e32 v118, 0xbe8c1d8e, v119
	s_delay_alu instid0(VALU_DEP_4)
	v_dual_add_f32 v120, v211, v131 :: v_dual_fmamk_f32 v131, v121, 0xbe8c1d8e, v212
	v_fma_f32 v207, 0x3f3d2fb0, v214, -v207
	v_mul_f32_e32 v211, 0xbf59a7d5, v119
	v_add_f32_e32 v117, v117, v125
	v_add_f32_e32 v204, v204, v213
	;; [unrolled: 1-line block ×3, first 2 shown]
	v_fma_f32 v131, 0xbe8c1d8e, v121, -v212
	v_add_f32_e32 v129, v207, v129
	v_mul_f32_e32 v207, 0x3f06c442, v209
	v_mul_f32_e32 v212, 0x3f3d2fb0, v119
	s_delay_alu instid0(VALU_DEP_4) | instskip(SKIP_3) | instid1(VALU_DEP_3)
	v_add_f32_e32 v123, v131, v123
	v_fmamk_f32 v131, v116, 0xbf06c442, v211
	v_fmamk_f32 v125, v116, 0x3f763a35, v118
	v_fmac_f32_e32 v118, 0xbf763a35, v116
	v_dual_fmac_f32 v211, 0x3f06c442, v116 :: v_dual_add_f32 v130, v131, v130
	s_delay_alu instid0(VALU_DEP_3) | instskip(NEXT) | instid1(VALU_DEP_2)
	v_add_f32_e32 v125, v125, v132
	v_dual_fmamk_f32 v132, v121, 0xbf59a7d5, v207 :: v_dual_add_f32 v131, v211, v133
	s_delay_alu instid0(VALU_DEP_4) | instskip(SKIP_2) | instid1(VALU_DEP_4)
	v_add_f32_e32 v118, v118, v122
	v_mul_f32_e32 v122, 0x3f2c7751, v209
	v_fmamk_f32 v133, v116, 0xbf2c7751, v212
	v_add_f32_e32 v126, v132, v126
	v_fma_f32 v132, 0xbf59a7d5, v121, -v207
	v_fmac_f32_e32 v212, 0x3f2c7751, v116
	v_fmamk_f32 v207, v121, 0x3f3d2fb0, v122
	v_fma_f32 v122, 0x3f3d2fb0, v121, -v122
	v_mul_f32_e32 v211, 0xbe3c28d5, v209
	s_delay_alu instid0(VALU_DEP_2) | instskip(SKIP_4) | instid1(VALU_DEP_3)
	v_dual_add_f32 v127, v132, v127 :: v_dual_add_f32 v122, v122, v128
	v_add_f32_e32 v128, v212, v192
	v_dual_add_f32 v132, v207, v193 :: v_dual_mul_f32 v207, 0x3ee437d1, v119
	v_add_f32_e32 v133, v133, v191
	v_mul_f32_e32 v212, 0x3dbcf732, v119
	v_fmamk_f32 v192, v116, 0x3f65296c, v207
	s_delay_alu instid0(VALU_DEP_1) | instskip(NEXT) | instid1(VALU_DEP_1)
	v_dual_mul_f32 v193, 0xbf65296c, v209 :: v_dual_add_f32 v176, v192, v176
	v_fmamk_f32 v191, v121, 0x3ee437d1, v193
	v_fmamk_f32 v192, v121, 0xbf7ba420, v211
	v_fma_f32 v193, 0x3ee437d1, v121, -v193
	s_delay_alu instid0(VALU_DEP_3) | instskip(SKIP_1) | instid1(VALU_DEP_4)
	v_add_f32_e32 v191, v191, v199
	v_mul_f32_e32 v199, 0xbf7ba420, v119
	v_add_f32_e32 v175, v192, v175
	s_delay_alu instid0(VALU_DEP_2) | instskip(NEXT) | instid1(VALU_DEP_1)
	v_dual_add_f32 v193, v193, v195 :: v_dual_fmamk_f32 v192, v116, 0x3e3c28d5, v199
	v_add_f32_e32 v192, v192, v200
	v_fmamk_f32 v200, v116, 0xbf7ee86f, v212
	v_fmac_f32_e32 v207, 0xbf65296c, v116
	v_fmac_f32_e32 v212, 0x3f7ee86f, v116
	s_delay_alu instid0(VALU_DEP_3) | instskip(NEXT) | instid1(VALU_DEP_3)
	v_add_f32_e32 v200, v200, v201
	v_add_f32_e32 v195, v207, v197
	v_mul_f32_e32 v197, 0x3f7ee86f, v209
	v_fma_f32 v207, 0xbf7ba420, v121, -v211
	s_delay_alu instid0(VALU_DEP_1) | instskip(SKIP_3) | instid1(VALU_DEP_2)
	v_dual_fmamk_f32 v211, v121, 0x3dbcf732, v197 :: v_dual_add_f32 v194, v207, v194
	v_fma_f32 v197, 0x3dbcf732, v121, -v197
	v_mul_f32_e32 v207, 0x3f6eb680, v119
	v_mul_f32_e32 v119, 0xbf1a4643, v119
	v_dual_add_f32 v197, v197, v198 :: v_dual_fmamk_f32 v198, v116, 0x3eb8f4ab, v207
	s_delay_alu instid0(VALU_DEP_1) | instskip(NEXT) | instid1(VALU_DEP_1)
	v_dual_fmac_f32 v207, 0xbeb8f4ab, v116 :: v_dual_add_f32 v198, v198, v210
	v_add_f32_e32 v204, v207, v204
	v_fmac_f32_e32 v199, 0xbe3c28d5, v116
	v_fmamk_f32 v207, v116, 0x3f4c4adb, v119
	v_fmac_f32_e32 v119, 0xbf4c4adb, v116
	s_delay_alu instid0(VALU_DEP_3) | instskip(SKIP_1) | instid1(VALU_DEP_1)
	v_add_f32_e32 v196, v199, v196
	v_dual_add_f32 v199, v211, v202 :: v_dual_mul_f32 v202, 0xbeb8f4ab, v209
	v_dual_add_f32 v120, v207, v120 :: v_dual_fmamk_f32 v201, v121, 0x3f6eb680, v202
	v_fma_f32 v202, 0x3f6eb680, v121, -v202
	s_delay_alu instid0(VALU_DEP_1) | instskip(SKIP_1) | instid1(VALU_DEP_1)
	v_add_f32_e32 v202, v202, v203
	v_sub_f32_e32 v203, v109, v115
	v_dual_mul_f32 v209, 0xbf4c4adb, v209 :: v_dual_mul_f32 v210, 0xbf4c4adb, v203
	v_add_f32_e32 v205, v212, v205
	v_add_f32_e32 v201, v201, v208
	s_delay_alu instid0(VALU_DEP_3) | instskip(NEXT) | instid1(VALU_DEP_1)
	v_fmamk_f32 v208, v121, 0xbf1a4643, v209
	v_add_f32_e32 v206, v208, v206
	v_add_f32_e32 v208, v114, v108
	v_dual_sub_f32 v108, v108, v114 :: v_dual_add_f32 v109, v115, v109
	v_fma_f32 v115, 0xbf1a4643, v121, -v209
	s_delay_alu instid0(VALU_DEP_3) | instskip(NEXT) | instid1(VALU_DEP_3)
	v_dual_add_f32 v117, v119, v117 :: v_dual_fmamk_f32 v114, v208, 0xbf1a4643, v210
	v_mul_f32_e32 v116, 0xbf1a4643, v109
	s_delay_alu instid0(VALU_DEP_2) | instskip(SKIP_1) | instid1(VALU_DEP_3)
	v_add_f32_e32 v114, v114, v124
	v_fma_f32 v124, 0xbf1a4643, v208, -v210
	v_fmamk_f32 v119, v108, 0x3f4c4adb, v116
	v_dual_fmac_f32 v116, 0xbf4c4adb, v108 :: v_dual_add_f32 v115, v115, v129
	v_mul_f32_e32 v129, 0xbe8c1d8e, v109
	s_delay_alu instid0(VALU_DEP_2) | instskip(NEXT) | instid1(VALU_DEP_2)
	v_dual_mul_f32 v121, 0x3f763a35, v203 :: v_dual_add_f32 v116, v116, v118
	v_fmamk_f32 v118, v108, 0xbf763a35, v129
	v_add_f32_e32 v123, v124, v123
	v_mul_f32_e32 v124, 0xbeb8f4ab, v203
	v_fmac_f32_e32 v129, 0x3f763a35, v108
	s_delay_alu instid0(VALU_DEP_4) | instskip(SKIP_4) | instid1(VALU_DEP_1)
	v_dual_mul_f32 v207, 0xbf59a7d5, v109 :: v_dual_add_f32 v118, v118, v130
	v_mul_f32_e32 v130, 0x3f6eb680, v109
	v_add_f32_e32 v119, v119, v125
	v_fmamk_f32 v125, v208, 0xbe8c1d8e, v121
	v_fma_f32 v121, 0xbe8c1d8e, v208, -v121
	v_add_f32_e32 v121, v121, v127
	v_add_f32_e32 v127, v129, v131
	v_mul_f32_e32 v129, 0xbf06c442, v203
	v_dual_add_f32 v125, v125, v126 :: v_dual_fmamk_f32 v126, v208, 0x3f6eb680, v124
	v_fmamk_f32 v131, v108, 0x3eb8f4ab, v130
	v_fma_f32 v124, 0x3f6eb680, v208, -v124
	v_fmac_f32_e32 v130, 0xbeb8f4ab, v108
	s_delay_alu instid0(VALU_DEP_4) | instskip(NEXT) | instid1(VALU_DEP_4)
	v_add_f32_e32 v126, v126, v132
	v_dual_fmamk_f32 v132, v208, 0xbf59a7d5, v129 :: v_dual_add_f32 v131, v131, v133
	s_delay_alu instid0(VALU_DEP_4) | instskip(NEXT) | instid1(VALU_DEP_4)
	v_add_f32_e32 v122, v124, v122
	v_add_f32_e32 v124, v130, v128
	v_fmamk_f32 v130, v108, 0x3f06c442, v207
	s_delay_alu instid0(VALU_DEP_4) | instskip(SKIP_4) | instid1(VALU_DEP_4)
	v_add_f32_e32 v128, v132, v191
	v_mul_f32_e32 v132, 0x3f7ee86f, v203
	v_fma_f32 v129, 0xbf59a7d5, v208, -v129
	v_fmac_f32_e32 v207, 0xbf06c442, v108
	v_dual_mul_f32 v133, 0x3dbcf732, v109 :: v_dual_add_f32 v130, v130, v176
	v_fmamk_f32 v176, v208, 0x3dbcf732, v132
	v_fma_f32 v132, 0x3dbcf732, v208, -v132
	s_delay_alu instid0(VALU_DEP_4)
	v_add_f32_e32 v191, v207, v195
	v_mul_f32_e32 v195, 0xbf2c7751, v203
	v_add_f32_e32 v129, v129, v193
	v_fmamk_f32 v193, v108, 0xbf7ee86f, v133
	v_add_f32_e32 v175, v176, v175
	v_dual_fmac_f32 v133, 0x3f7ee86f, v108 :: v_dual_add_f32 v132, v132, v194
	v_mul_f32_e32 v194, 0xbe3c28d5, v203
	s_delay_alu instid0(VALU_DEP_4) | instskip(NEXT) | instid1(VALU_DEP_3)
	v_dual_add_f32 v176, v193, v192 :: v_dual_mul_f32 v193, 0x3f3d2fb0, v109
	v_dual_fmamk_f32 v192, v208, 0x3f3d2fb0, v195 :: v_dual_add_f32 v133, v133, v196
	v_fma_f32 v195, 0x3f3d2fb0, v208, -v195
	v_mul_f32_e32 v207, 0xbf7ba420, v109
	s_delay_alu instid0(VALU_DEP_4) | instskip(NEXT) | instid1(VALU_DEP_4)
	v_fmamk_f32 v196, v108, 0x3f2c7751, v193
	v_add_f32_e32 v192, v192, v199
	v_fmamk_f32 v199, v208, 0xbf7ba420, v194
	v_add_f32_e32 v195, v195, v197
	s_delay_alu instid0(VALU_DEP_4) | instskip(SKIP_4) | instid1(VALU_DEP_4)
	v_dual_mul_f32 v109, 0x3ee437d1, v109 :: v_dual_add_f32 v196, v196, v200
	v_dual_mul_f32 v200, 0x3f65296c, v203 :: v_dual_sub_f32 v203, v111, v113
	v_add_f32_e32 v111, v113, v111
	v_fmac_f32_e32 v193, 0xbf2c7751, v108
	v_fma_f32 v194, 0xbf7ba420, v208, -v194
	v_mul_f32_e32 v113, 0xbf06c442, v203
	v_add_f32_e32 v197, v199, v201
	v_fmamk_f32 v201, v108, 0xbf65296c, v109
	v_fmac_f32_e32 v109, 0x3f65296c, v108
	v_fmamk_f32 v199, v108, 0x3e3c28d5, v207
	v_fmac_f32_e32 v207, 0xbe3c28d5, v108
	v_sub_f32_e32 v108, v110, v112
	v_dual_add_f32 v120, v201, v120 :: v_dual_add_f32 v201, v112, v110
	v_add_f32_e32 v109, v109, v117
	v_dual_mul_f32 v117, 0x3f65296c, v203 :: v_dual_add_f32 v198, v199, v198
	v_fmamk_f32 v199, v208, 0x3ee437d1, v200
	s_delay_alu instid0(VALU_DEP_4)
	v_fmamk_f32 v112, v201, 0xbf59a7d5, v113
	v_fma_f32 v200, 0x3ee437d1, v208, -v200
	v_mul_f32_e32 v110, 0xbf59a7d5, v111
	v_add_f32_e32 v194, v194, v202
	v_add_f32_e32 v202, v207, v204
	;; [unrolled: 1-line block ×3, first 2 shown]
	v_dual_fmamk_f32 v114, v201, 0x3ee437d1, v117 :: v_dual_add_f32 v115, v200, v115
	v_fmamk_f32 v200, v108, 0x3f06c442, v110
	v_fmac_f32_e32 v110, 0xbf06c442, v108
	s_delay_alu instid0(VALU_DEP_3) | instskip(SKIP_1) | instid1(VALU_DEP_4)
	v_add_f32_e32 v114, v114, v125
	v_add_f32_e32 v193, v193, v205
	;; [unrolled: 1-line block ×3, first 2 shown]
	v_dual_mul_f32 v200, 0x3ee437d1, v111 :: v_dual_add_f32 v199, v199, v206
	v_add_f32_e32 v110, v110, v116
	v_mul_f32_e32 v116, 0xbf7ee86f, v203
	v_fma_f32 v113, 0xbf59a7d5, v201, -v113
	v_fma_f32 v117, 0x3ee437d1, v201, -v117
	s_delay_alu instid0(VALU_DEP_3) | instskip(NEXT) | instid1(VALU_DEP_3)
	v_fmamk_f32 v204, v201, 0x3dbcf732, v116
	v_add_f32_e32 v113, v113, v123
	v_fmamk_f32 v123, v108, 0xbf65296c, v200
	v_fmac_f32_e32 v200, 0x3f65296c, v108
	v_mul_f32_e32 v125, 0x3dbcf732, v111
	v_fma_f32 v116, 0x3dbcf732, v201, -v116
	s_delay_alu instid0(VALU_DEP_4) | instskip(SKIP_1) | instid1(VALU_DEP_4)
	v_dual_add_f32 v117, v117, v121 :: v_dual_add_f32 v118, v123, v118
	v_add_f32_e32 v126, v204, v126
	v_fmamk_f32 v123, v108, 0x3f7ee86f, v125
	s_delay_alu instid0(VALU_DEP_4) | instskip(NEXT) | instid1(VALU_DEP_2)
	v_dual_fmac_f32 v125, 0xbf7ee86f, v108 :: v_dual_add_f32 v116, v116, v122
	v_add_f32_e32 v123, v123, v131
	s_delay_alu instid0(VALU_DEP_2) | instskip(SKIP_3) | instid1(VALU_DEP_4)
	v_dual_mul_f32 v131, 0xbf1a4643, v111 :: v_dual_add_f32 v122, v125, v124
	v_mul_f32_e32 v124, 0xbeb8f4ab, v203
	v_add_f32_e32 v121, v200, v127
	v_mul_f32_e32 v127, 0x3f4c4adb, v203
	v_fmamk_f32 v125, v108, 0xbf4c4adb, v131
	v_fmac_f32_e32 v131, 0x3f4c4adb, v108
	s_delay_alu instid0(VALU_DEP_3) | instskip(SKIP_1) | instid1(VALU_DEP_4)
	v_fmamk_f32 v200, v201, 0xbf1a4643, v127
	v_fma_f32 v127, 0xbf1a4643, v201, -v127
	v_dual_add_f32 v125, v125, v130 :: v_dual_mul_f32 v130, 0x3f6eb680, v111
	s_delay_alu instid0(VALU_DEP_3) | instskip(NEXT) | instid1(VALU_DEP_3)
	v_add_f32_e32 v128, v200, v128
	v_dual_fmamk_f32 v200, v201, 0x3f6eb680, v124 :: v_dual_add_f32 v127, v127, v129
	v_add_f32_e32 v129, v131, v191
	s_delay_alu instid0(VALU_DEP_4) | instskip(SKIP_2) | instid1(VALU_DEP_3)
	v_fmamk_f32 v191, v108, 0x3eb8f4ab, v130
	v_fma_f32 v124, 0x3f6eb680, v201, -v124
	v_fmac_f32_e32 v130, 0xbeb8f4ab, v108
	v_dual_add_f32 v176, v191, v176 :: v_dual_mul_f32 v191, 0x3f2c7751, v203
	v_add_f32_e32 v131, v200, v175
	v_mul_f32_e32 v175, 0xbe3c28d5, v203
	v_mul_f32_e32 v200, 0xbf7ba420, v111
	v_add_f32_e32 v124, v124, v132
	v_add_f32_e32 v130, v130, v133
	s_delay_alu instid0(VALU_DEP_4) | instskip(NEXT) | instid1(VALU_DEP_4)
	v_fmamk_f32 v204, v201, 0xbf7ba420, v175
	v_fmamk_f32 v132, v108, 0x3e3c28d5, v200
	v_fma_f32 v175, 0xbf7ba420, v201, -v175
	v_fmac_f32_e32 v200, 0xbe3c28d5, v108
	s_delay_alu instid0(VALU_DEP_4) | instskip(NEXT) | instid1(VALU_DEP_3)
	v_dual_add_f32 v133, v204, v192 :: v_dual_mul_f32 v192, 0x3f3d2fb0, v111
	v_dual_add_f32 v132, v132, v196 :: v_dual_add_f32 v175, v175, v195
	s_delay_alu instid0(VALU_DEP_3) | instskip(SKIP_1) | instid1(VALU_DEP_4)
	v_add_f32_e32 v193, v200, v193
	v_mul_f32_e32 v195, 0xbf763a35, v203
	v_fmamk_f32 v200, v108, 0xbf2c7751, v192
	v_fmac_f32_e32 v192, 0x3f2c7751, v108
	v_fmamk_f32 v196, v201, 0x3f3d2fb0, v191
	v_fma_f32 v191, 0x3f3d2fb0, v201, -v191
	s_delay_alu instid0(VALU_DEP_4) | instskip(NEXT) | instid1(VALU_DEP_4)
	v_dual_mul_f32 v111, 0xbe8c1d8e, v111 :: v_dual_add_f32 v198, v200, v198
	v_add_f32_e32 v192, v192, v202
	s_delay_alu instid0(VALU_DEP_4)
	v_dual_add_f32 v196, v196, v197 :: v_dual_fmamk_f32 v197, v201, 0xbe8c1d8e, v195
	v_add_f32_e32 v200, v107, v105
	v_sub_f32_e32 v202, v104, v106
	v_add_f32_e32 v191, v191, v194
	v_fma_f32 v195, 0xbe8c1d8e, v201, -v195
	v_add_f32_e32 v194, v197, v199
	v_sub_f32_e32 v197, v105, v107
	v_add_f32_e32 v201, v106, v104
	v_mul_f32_e32 v107, 0xbf7ba420, v200
	v_fmamk_f32 v199, v108, 0x3f763a35, v111
	v_fmac_f32_e32 v111, 0xbf763a35, v108
	v_mul_f32_e32 v105, 0xbe3c28d5, v197
	s_delay_alu instid0(VALU_DEP_4) | instskip(SKIP_1) | instid1(VALU_DEP_1)
	v_fmamk_f32 v106, v202, 0x3e3c28d5, v107
	v_fmac_f32_e32 v107, 0xbe3c28d5, v202
	v_dual_fmamk_f32 v104, v201, 0xbf7ba420, v105 :: v_dual_add_f32 v107, v107, v110
	s_delay_alu instid0(VALU_DEP_1) | instskip(SKIP_1) | instid1(VALU_DEP_1)
	v_add_f32_e32 v104, v104, v112
	v_mul_f32_e32 v112, 0x3f6eb680, v200
	v_dual_add_f32 v199, v199, v120 :: v_dual_fmamk_f32 v110, v202, 0xbeb8f4ab, v112
	v_fmac_f32_e32 v112, 0x3eb8f4ab, v202
	v_fma_f32 v108, 0xbf7ba420, v201, -v105
	v_add_f32_e32 v105, v106, v119
	s_delay_alu instid0(VALU_DEP_2)
	v_dual_mul_f32 v119, 0x3f3d2fb0, v200 :: v_dual_add_f32 v106, v108, v113
	v_mul_f32_e32 v113, 0xbf06c442, v197
	v_add_f32_e32 v195, v195, v115
	v_mul_f32_e32 v115, 0xbf59a7d5, v200
	v_add_f32_e32 v203, v111, v109
	v_mul_f32_e32 v109, 0x3eb8f4ab, v197
	s_delay_alu instid0(VALU_DEP_1) | instskip(NEXT) | instid1(VALU_DEP_1)
	v_fmamk_f32 v111, v201, 0x3f6eb680, v109
	v_add_f32_e32 v108, v111, v114
	v_fma_f32 v111, 0x3f6eb680, v201, -v109
	v_dual_fmamk_f32 v114, v201, 0xbf59a7d5, v113 :: v_dual_add_f32 v109, v110, v118
	v_fma_f32 v118, 0xbf59a7d5, v201, -v113
	s_delay_alu instid0(VALU_DEP_3) | instskip(NEXT) | instid1(VALU_DEP_3)
	v_add_f32_e32 v110, v111, v117
	v_dual_add_f32 v111, v112, v121 :: v_dual_add_f32 v112, v114, v126
	v_fmamk_f32 v114, v202, 0x3f06c442, v115
	v_mul_f32_e32 v117, 0x3f2c7751, v197
	v_fmac_f32_e32 v115, 0xbf06c442, v202
	v_mul_f32_e32 v121, 0xbf4c4adb, v197
	s_delay_alu instid0(VALU_DEP_3) | instskip(SKIP_3) | instid1(VALU_DEP_4)
	v_dual_add_f32 v113, v114, v123 :: v_dual_fmamk_f32 v120, v201, 0x3f3d2fb0, v117
	v_add_f32_e32 v114, v118, v116
	v_fmamk_f32 v118, v202, 0xbf2c7751, v119
	v_mul_f32_e32 v123, 0xbf1a4643, v200
	v_dual_fmac_f32 v119, 0x3f2c7751, v202 :: v_dual_add_f32 v116, v120, v128
	v_dual_mul_f32 v128, 0x3ee437d1, v200 :: v_dual_add_f32 v115, v115, v122
	v_fma_f32 v120, 0x3f3d2fb0, v201, -v117
	v_dual_add_f32 v117, v118, v125 :: v_dual_fmamk_f32 v122, v201, 0xbf1a4643, v121
	v_mul_f32_e32 v125, 0x3f65296c, v197
	v_fma_f32 v126, 0xbf1a4643, v201, -v121
	s_delay_alu instid0(VALU_DEP_4) | instskip(NEXT) | instid1(VALU_DEP_4)
	v_dual_add_f32 v118, v120, v127 :: v_dual_add_f32 v119, v119, v129
	v_add_f32_e32 v120, v122, v131
	v_fmamk_f32 v122, v202, 0x3f4c4adb, v123
	v_fmamk_f32 v127, v201, 0x3ee437d1, v125
	v_fmac_f32_e32 v123, 0xbf4c4adb, v202
	v_mul_f32_e32 v129, 0xbf763a35, v197
	v_mul_f32_e32 v131, 0xbe8c1d8e, v200
	v_add_f32_e32 v121, v122, v176
	v_add_f32_e32 v122, v126, v124
	;; [unrolled: 1-line block ×3, first 2 shown]
	v_fmamk_f32 v126, v202, 0xbf65296c, v128
	v_fma_f32 v127, 0x3ee437d1, v201, -v125
	v_add_f32_e32 v123, v123, v130
	v_fmac_f32_e32 v128, 0x3f65296c, v202
	v_fmamk_f32 v130, v201, 0xbe8c1d8e, v129
	v_fma_f32 v133, 0xbe8c1d8e, v201, -v129
	v_mul_f32_e32 v176, 0x3dbcf732, v200
	v_dual_add_f32 v125, v126, v132 :: v_dual_add_f32 v126, v127, v175
	v_fmamk_f32 v132, v202, 0x3f763a35, v131
	v_mul_f32_e32 v175, 0x3f7ee86f, v197
	v_dual_add_f32 v127, v128, v193 :: v_dual_add_f32 v128, v130, v196
	s_delay_alu instid0(VALU_DEP_3) | instskip(NEXT) | instid1(VALU_DEP_3)
	v_dual_add_f32 v130, v133, v191 :: v_dual_add_f32 v129, v132, v198
	v_fmamk_f32 v132, v201, 0x3dbcf732, v175
	v_fmamk_f32 v133, v202, 0xbf7ee86f, v176
	v_fmac_f32_e32 v176, 0x3f7ee86f, v202
	v_fma_f32 v175, 0x3dbcf732, v201, -v175
	v_fmac_f32_e32 v131, 0xbf763a35, v202
	s_delay_alu instid0(VALU_DEP_4) | instskip(NEXT) | instid1(VALU_DEP_4)
	v_dual_add_f32 v132, v132, v194 :: v_dual_add_f32 v133, v133, v199
	v_add_f32_e32 v176, v176, v203
	s_delay_alu instid0(VALU_DEP_4) | instskip(NEXT) | instid1(VALU_DEP_4)
	v_add_f32_e32 v175, v175, v195
	v_add_f32_e32 v131, v131, v192
	ds_store_2addr_b64 v184, v[134:135], v[104:105] offset1:1
	ds_store_2addr_b64 v184, v[108:109], v[112:113] offset0:2 offset1:3
	ds_store_2addr_b64 v184, v[116:117], v[120:121] offset0:4 offset1:5
	;; [unrolled: 1-line block ×7, first 2 shown]
	ds_store_b64 v184, v[106:107] offset:128
	s_and_saveexec_b32 s0, vcc_lo
	s_cbranch_execz .LBB0_13
; %bb.12:
	v_dual_add_f32 v104, v91, v89 :: v_dual_add_f32 v105, v90, v88
	v_sub_f32_e32 v114, v90, v173
	v_dual_mov_b32 v34, v179 :: v_dual_mov_b32 v35, v180
	s_delay_alu instid0(VALU_DEP_3)
	v_dual_add_f32 v104, v97, v104 :: v_dual_add_f32 v105, v96, v105
	v_mov_b32_e32 v43, v33
	v_add_f32_e32 v90, v173, v90
	scratch_store_b32 off, v177, off offset:128 ; 4-byte Folded Spill
	v_dual_add_f32 v104, v99, v104 :: v_dual_add_f32 v105, v98, v105
	v_dual_mov_b32 v38, v186 :: v_dual_mov_b32 v39, v187
	v_mov_b32_e32 v28, v166
	s_delay_alu instid0(VALU_DEP_3) | instskip(SKIP_2) | instid1(VALU_DEP_3)
	v_dual_add_f32 v104, v101, v104 :: v_dual_add_f32 v105, v100, v105
	v_mov_b32_e32 v29, v167
	v_dual_mov_b32 v167, v141 :: v_dual_mov_b32 v40, v30
	v_add_f32_e32 v104, v103, v104
	s_delay_alu instid0(VALU_DEP_4) | instskip(SKIP_1) | instid1(VALU_DEP_3)
	v_dual_add_f32 v106, v102, v105 :: v_dual_sub_f32 v105, v92, v78
	v_dual_mov_b32 v166, v140 :: v_dual_mov_b32 v41, v31
	v_add_f32_e32 v109, v93, v104
	s_delay_alu instid0(VALU_DEP_3) | instskip(SKIP_1) | instid1(VALU_DEP_3)
	v_dual_add_f32 v107, v79, v93 :: v_dual_add_f32 v110, v92, v106
	v_add_f32_e32 v108, v77, v95
	v_dual_sub_f32 v104, v94, v76 :: v_dual_add_f32 v109, v95, v109
	s_delay_alu instid0(VALU_DEP_3) | instskip(SKIP_2) | instid1(VALU_DEP_3)
	v_dual_sub_f32 v95, v95, v77 :: v_dual_add_f32 v110, v94, v110
	v_dual_sub_f32 v106, v93, v79 :: v_dual_add_f32 v93, v78, v92
	v_add_f32_e32 v92, v76, v94
	v_dual_add_f32 v94, v1, v109 :: v_dual_add_f32 v109, v0, v110
	s_delay_alu instid0(VALU_DEP_3) | instskip(NEXT) | instid1(VALU_DEP_2)
	v_dual_add_f32 v110, v21, v103 :: v_dual_mul_f32 v203, 0x3f65296c, v106
	v_dual_mul_f32 v243, 0xbeb8f4ab, v95 :: v_dual_add_f32 v94, v3, v94
	s_delay_alu instid0(VALU_DEP_3) | instskip(SKIP_3) | instid1(VALU_DEP_4)
	v_dual_add_f32 v109, v2, v109 :: v_dual_mul_f32 v200, 0xbe8c1d8e, v108
	v_mul_f32_e32 v211, 0xbf7ba420, v107
	v_mul_f32_e32 v217, 0x3f2c7751, v95
	;; [unrolled: 1-line block ×3, first 2 shown]
	v_add_f32_e32 v76, v76, v109
	v_add_f32_e32 v109, v23, v101
	v_sub_f32_e32 v101, v101, v23
	v_dual_add_f32 v94, v77, v94 :: v_dual_mul_f32 v237, 0x3dbcf732, v107
	v_mul_f32_e32 v249, 0xbf59a7d5, v107
	s_delay_alu instid0(VALU_DEP_4) | instskip(NEXT) | instid1(VALU_DEP_4)
	v_mul_f32_e32 v209, 0xbf1a4643, v109
	v_mul_f32_e32 v201, 0x3f2c7751, v101
	s_delay_alu instid0(VALU_DEP_4) | instskip(SKIP_3) | instid1(VALU_DEP_4)
	v_add_f32_e32 v111, v79, v94
	v_dual_sub_f32 v77, v100, v22 :: v_dual_add_f32 v112, v78, v76
	v_sub_f32_e32 v76, v102, v20
	v_add_f32_e32 v78, v20, v102
	v_dual_add_f32 v102, v21, v111 :: v_dual_add_f32 v79, v22, v100
	s_delay_alu instid0(VALU_DEP_4) | instskip(SKIP_1) | instid1(VALU_DEP_3)
	v_add_f32_e32 v20, v20, v112
	v_dual_sub_f32 v94, v103, v21 :: v_dual_sub_f32 v21, v96, v6
	v_dual_add_f32 v103, v23, v102 :: v_dual_add_f32 v102, v5, v99
	v_dual_add_f32 v23, v6, v96 :: v_dual_sub_f32 v96, v99, v5
	v_mul_f32_e32 v197, 0xbf1a4643, v110
	s_delay_alu instid0(VALU_DEP_3)
	v_add_f32_e32 v5, v5, v103
	v_add_f32_e32 v111, v22, v20
	v_sub_f32_e32 v20, v98, v4
	v_add_f32_e32 v22, v4, v98
	v_add_f32_e32 v98, v174, v91
	v_dual_add_f32 v100, v7, v97 :: v_dual_sub_f32 v97, v97, v7
	v_add_f32_e32 v5, v7, v5
	v_sub_f32_e32 v91, v91, v174
	s_delay_alu instid0(VALU_DEP_4) | instskip(NEXT) | instid1(VALU_DEP_4)
	v_mul_f32_e32 v99, 0xbf7ba420, v98
	v_mul_f32_e32 v207, 0x3ee437d1, v100
	;; [unrolled: 1-line block ×3, first 2 shown]
	v_add_f32_e32 v196, v174, v5
	v_mul_f32_e32 v124, 0xbf4c4adb, v91
	v_fmamk_f32 v115, v114, 0x3e3c28d5, v99
	v_fmac_f32_e32 v99, 0xbe3c28d5, v114
	v_dual_mul_f32 v7, 0xbf1a4643, v98 :: v_dual_add_f32 v4, v4, v111
	v_mul_f32_e32 v111, 0x3dbcf732, v98
	v_mul_f32_e32 v103, 0xbe8c1d8e, v98
	;; [unrolled: 1-line block ×3, first 2 shown]
	s_delay_alu instid0(VALU_DEP_4)
	v_fmamk_f32 v117, v114, 0x3f4c4adb, v7
	v_dual_fmac_f32 v7, 0xbf4c4adb, v114 :: v_dual_add_f32 v4, v6, v4
	v_fmamk_f32 v131, v90, 0xbf1a4643, v124
	v_dual_mul_f32 v6, 0xbf59a7d5, v98 :: v_dual_add_f32 v115, v89, v115
	v_fmamk_f32 v118, v114, 0x3f763a35, v103
	v_mul_f32_e32 v128, 0xbf2c7751, v91
	s_delay_alu instid0(VALU_DEP_4)
	v_add_f32_e32 v131, v88, v131
	v_fmamk_f32 v121, v114, 0x3f2c7751, v113
	v_fmac_f32_e32 v113, 0xbf2c7751, v114
	v_dual_fmamk_f32 v116, v114, 0x3f06c442, v6 :: v_dual_add_f32 v117, v89, v117
	v_dual_fmac_f32 v6, 0xbf06c442, v114 :: v_dual_mul_f32 v123, 0xbf06c442, v91
	v_dual_fmamk_f32 v135, v90, 0x3f3d2fb0, v128 :: v_dual_add_f32 v184, v89, v99
	v_mul_f32_e32 v112, 0x3ee437d1, v98
	v_mul_f32_e32 v98, 0x3f6eb680, v98
	;; [unrolled: 1-line block ×3, first 2 shown]
	s_delay_alu instid0(VALU_DEP_4)
	v_dual_fmamk_f32 v130, v90, 0xbf59a7d5, v123 :: v_dual_add_f32 v135, v88, v135
	v_fmamk_f32 v119, v114, 0x3f7ee86f, v111
	v_fmac_f32_e32 v111, 0xbf7ee86f, v114
	v_dual_fmac_f32 v103, 0xbf763a35, v114 :: v_dual_add_f32 v116, v89, v116
	v_fmamk_f32 v133, v90, 0x3dbcf732, v126
	v_fmamk_f32 v122, v114, 0x3eb8f4ab, v98
	v_fmac_f32_e32 v98, 0xbeb8f4ab, v114
	v_add_f32_e32 v130, v88, v130
	v_dual_fmamk_f32 v120, v114, 0x3f65296c, v112 :: v_dual_add_f32 v119, v89, v119
	v_dual_fmac_f32 v112, 0xbf65296c, v114 :: v_dual_mul_f32 v127, 0xbf65296c, v91
	v_add_f32_e32 v118, v89, v118
	v_dual_mul_f32 v114, 0xbe3c28d5, v91 :: v_dual_add_f32 v121, v89, v121
	v_fma_f32 v123, 0xbf59a7d5, v90, -v123
	v_add_f32_e32 v6, v89, v6
	v_add_f32_e32 v195, v173, v4
	v_mul_f32_e32 v173, 0x3f6eb680, v100
	v_dual_fmamk_f32 v129, v90, 0xbf7ba420, v114 :: v_dual_add_f32 v120, v89, v120
	v_fma_f32 v114, 0xbf7ba420, v90, -v114
	scratch_store_b32 off, v6, off offset:136 ; 4-byte Folded Spill
	v_add_f32_e32 v6, v88, v123
	v_mul_f32_e32 v125, 0xbf763a35, v91
	v_dual_mul_f32 v91, 0xbeb8f4ab, v91 :: v_dual_add_f32 v16, v88, v114
	v_fma_f32 v124, 0xbf1a4643, v90, -v124
	scratch_store_b32 off, v6, off offset:132 ; 4-byte Folded Spill
	v_dual_add_f32 v6, v89, v7 :: v_dual_sub_f32 v7, v0, v2
	v_fmamk_f32 v175, v90, 0x3f6eb680, v91
	v_fmamk_f32 v132, v90, 0xbe8c1d8e, v125
	v_mul_f32_e32 v174, 0xbf59a7d5, v102
	scratch_store_b32 off, v6, off offset:124 ; 4-byte Folded Spill
	v_add_f32_e32 v6, v88, v124
	v_add_f32_e32 v175, v88, v175
	;; [unrolled: 1-line block ×3, first 2 shown]
	v_fma_f32 v125, 0xbe8c1d8e, v90, -v125
	v_mul_f32_e32 v198, 0x3ee437d1, v107
	scratch_store_b32 off, v6, off offset:120 ; 4-byte Folded Spill
	v_add_f32_e32 v6, v89, v103
	v_fma_f32 v126, 0x3dbcf732, v90, -v126
	v_dual_fmamk_f32 v134, v90, 0x3ee437d1, v127 :: v_dual_add_f32 v103, v3, v1
	v_fma_f32 v127, 0x3ee437d1, v90, -v127
	scratch_store_b32 off, v6, off offset:116 ; 4-byte Folded Spill
	v_add_f32_e32 v6, v88, v125
	v_mul_f32_e32 v199, 0x3eb8f4ab, v97
	v_add_f32_e32 v129, v88, v129
	v_fma_f32 v128, 0x3f3d2fb0, v90, -v128
	v_fma_f32 v176, 0x3f6eb680, v90, -v91
	scratch_store_b32 off, v6, off offset:112 ; 4-byte Folded Spill
	v_add_f32_e32 v6, v89, v111
	v_mul_f32_e32 v205, 0x3dbcf732, v103
	v_mul_f32_e32 v228, 0x3f7ee86f, v94
	;; [unrolled: 1-line block ×4, first 2 shown]
	scratch_store_b32 off, v6, off offset:108 ; 4-byte Folded Spill
	v_add_f32_e32 v6, v88, v126
	v_mul_f32_e32 v210, 0x3f6eb680, v110
	v_fmamk_f32 v5, v20, 0x3f7ee86f, v208
	v_mul_f32_e32 v202, 0xbf4c4adb, v94
	v_mul_f32_e32 v225, 0x3f763a35, v97
	scratch_store_b32 off, v6, off offset:104 ; 4-byte Folded Spill
	v_dual_add_f32 v6, v89, v112 :: v_dual_mul_f32 v223, 0x3dbcf732, v110
	v_mul_f32_e32 v215, 0xbeb8f4ab, v94
	v_mul_f32_e32 v218, 0xbe8c1d8e, v103
	;; [unrolled: 1-line block ×3, first 2 shown]
	scratch_store_b32 off, v6, off offset:100 ; 4-byte Folded Spill
	v_add_f32_e32 v6, v88, v127
	v_mul_f32_e32 v234, 0x3f3d2fb0, v102
	v_mul_f32_e32 v229, 0xbf2c7751, v106
	;; [unrolled: 1-line block ×4, first 2 shown]
	scratch_store_b32 off, v6, off offset:96 ; 4-byte Folded Spill
	v_add_f32_e32 v6, v89, v113
	v_fmamk_f32 v112, v20, 0xbf2c7751, v234
	v_fmamk_f32 v99, v20, 0x3eb8f4ab, v221
	v_mul_f32_e32 v227, 0xbf06c442, v101
	v_mul_f32_e32 v222, 0xbf59a7d5, v109
	scratch_store_b32 off, v6, off offset:92 ; 4-byte Folded Spill
	v_add_f32_e32 v6, v88, v128
	v_dual_sub_f32 v128, v1, v3 :: v_dual_fmamk_f32 v3, v20, 0x3f06c442, v174
	v_mul_f32_e32 v204, 0xbf763a35, v95
	v_mul_f32_e32 v220, 0xbe8c1d8e, v100
	scratch_store_b32 off, v6, off offset:88 ; 4-byte Folded Spill
	v_dual_add_f32 v6, v89, v98 :: v_dual_mul_f32 v239, 0x3f2c7751, v96
	v_mul_f32_e32 v224, 0x3f3d2fb0, v107
	v_dual_mul_f32 v230, 0xbe3c28d5, v95 :: v_dual_mul_f32 v241, 0xbe3c28d5, v94
	scratch_store_b32 off, v6, off offset:80 ; 4-byte Folded Spill
	v_add_f32_e32 v6, v88, v176
	scratch_store_b32 off, v16, off offset:140 ; 4-byte Folded Spill
	v_mul_f32_e32 v176, 0x3f3d2fb0, v109
	v_mul_f32_e32 v231, 0x3ee437d1, v103
	;; [unrolled: 1-line block ×3, first 2 shown]
	scratch_store_b32 off, v6, off offset:84 ; 4-byte Folded Spill
	v_add_f32_e32 v6, v2, v0
	v_dual_fmamk_f32 v2, v21, 0xbeb8f4ab, v173 :: v_dual_add_f32 v133, v88, v133
	v_mul_f32_e32 v235, 0x3ee437d1, v109
	v_mul_f32_e32 v236, 0xbf7ba420, v110
	v_dual_mul_f32 v238, 0x3f06c442, v97 :: v_dual_mov_b32 v91, v183
	s_delay_alu instid0(VALU_DEP_4) | instskip(SKIP_3) | instid1(VALU_DEP_4)
	v_add_f32_e32 v2, v2, v115
	v_dual_mov_b32 v123, v150 :: v_dual_mul_f32 v240, 0xbf65296c, v101
	v_mul_f32_e32 v19, 0xbf65296c, v94
	v_mul_f32_e32 v242, 0x3f7ee86f, v106
	v_dual_add_f32 v2, v3, v2 :: v_dual_fmamk_f32 v3, v77, 0xbf2c7751, v176
	v_mul_f32_e32 v248, 0x3ee437d1, v110
	v_mul_f32_e32 v251, 0x3f763a35, v96
	;; [unrolled: 1-line block ×3, first 2 shown]
	s_delay_alu instid0(VALU_DEP_4)
	v_dual_mul_f32 v247, 0x3f6eb680, v109 :: v_dual_add_f32 v2, v3, v2
	v_fmamk_f32 v3, v76, 0x3f4c4adb, v197
	v_mul_f32_e32 v246, 0xbf7ba420, v100
	v_mul_f32_e32 v183, 0x3f4c4adb, v95
	;; [unrolled: 1-line block ×4, first 2 shown]
	v_dual_add_f32 v2, v3, v2 :: v_dual_fmamk_f32 v3, v105, 0xbf65296c, v198
	v_mov_b32_e32 v124, v188
	v_add_f32_e32 v134, v88, v134
	v_mul_f32_e32 v150, 0xbf06c442, v106
	v_mov_b32_e32 v90, v182
	v_add_f32_e32 v2, v3, v2
	v_fmamk_f32 v3, v23, 0x3f6eb680, v199
	v_mul_f32_e32 v177, 0x3f3d2fb0, v103
	v_mul_f32_e32 v182, 0xbf1a4643, v100
	;; [unrolled: 1-line block ×3, first 2 shown]
	s_delay_alu instid0(VALU_DEP_4)
	v_dual_mov_b32 v88, v138 :: v_dual_add_f32 v3, v3, v129
	v_mul_f32_e32 v129, 0xbf06c442, v96
	v_mul_f32_e32 v180, 0x3f763a35, v101
	;; [unrolled: 1-line block ×4, first 2 shown]
	v_add_f32_e32 v122, v89, v122
	v_fmamk_f32 v4, v22, 0xbf59a7d5, v129
	v_mul_f32_e32 v187, 0xbeb8f4ab, v106
	v_dual_mul_f32 v190, 0x3f6eb680, v107 :: v_dual_mov_b32 v89, v139
	v_mul_f32_e32 v139, 0xbf59a7d5, v103
	s_delay_alu instid0(VALU_DEP_4) | instskip(SKIP_4) | instid1(VALU_DEP_4)
	v_add_f32_e32 v3, v4, v3
	v_fmamk_f32 v4, v104, 0x3f763a35, v200
	v_mul_f32_e32 v138, 0xbf7ee86f, v95
	v_dual_mul_f32 v141, 0x3dbcf732, v100 :: v_dual_mov_b32 v126, v146
	v_mov_b32_e32 v16, v151
	v_add_f32_e32 v2, v4, v2
	v_fmamk_f32 v4, v79, 0x3f3d2fb0, v201
	v_mov_b32_e32 v26, v162
	v_mov_b32_e32 v24, v160
	v_mul_f32_e32 v254, 0xbf7ee86f, v101
	v_mov_b32_e32 v42, v32
	v_dual_add_f32 v3, v4, v3 :: v_dual_fmamk_f32 v4, v78, 0xbf1a4643, v202
	v_mov_b32_e32 v30, v168
	v_dual_mov_b32 v36, v252 :: v_dual_mov_b32 v31, v169
	v_mov_b32_e32 v169, v143
	s_delay_alu instid0(VALU_DEP_4)
	v_dual_add_f32 v3, v4, v3 :: v_dual_fmamk_f32 v4, v93, 0x3ee437d1, v203
	v_mov_b32_e32 v168, v142
	v_mul_f32_e32 v142, 0xbf7ba420, v109
	v_mul_f32_e32 v143, 0xbf59a7d5, v110
	v_dual_mul_f32 v110, 0xbe8c1d8e, v110 :: v_dual_mov_b32 v125, v172
	v_add_f32_e32 v3, v4, v3
	v_fmamk_f32 v4, v92, 0xbe8c1d8e, v204
	v_dual_mul_f32 v172, 0xbf4c4adb, v106 :: v_dual_fmac_f32 v197, 0xbf4c4adb, v76
	v_dual_mov_b32 v32, v170 :: v_dual_mov_b32 v33, v171
	s_delay_alu instid0(VALU_DEP_3) | instskip(SKIP_3) | instid1(VALU_DEP_4)
	v_dual_add_f32 v4, v4, v3 :: v_dual_fmamk_f32 v3, v7, 0xbf7ee86f, v205
	v_mul_f32_e32 v206, 0x3f7ee86f, v128
	v_mul_f32_e32 v219, 0xbf763a35, v128
	;; [unrolled: 1-line block ×3, first 2 shown]
	v_dual_mul_f32 v245, 0xbf4c4adb, v128 :: v_dual_add_f32 v194, v3, v2
	s_delay_alu instid0(VALU_DEP_4) | instskip(SKIP_2) | instid1(VALU_DEP_3)
	v_fmamk_f32 v2, v6, 0x3dbcf732, v206
	v_mul_f32_e32 v179, 0x3f2c7751, v128
	v_dual_mul_f32 v140, 0xbf06c442, v128 :: v_dual_mov_b32 v171, v145
	v_dual_mov_b32 v170, v144 :: v_dual_add_f32 v193, v2, v4
	v_fmamk_f32 v4, v21, 0xbf65296c, v207
	v_mul_f32_e32 v145, 0xbf7ee86f, v97
	v_fmac_f32_e32 v174, 0xbf06c442, v20
	v_dual_mul_f32 v144, 0xbe8c1d8e, v107 :: v_dual_mov_b32 v127, v147
	s_delay_alu instid0(VALU_DEP_4) | instskip(SKIP_2) | instid1(VALU_DEP_3)
	v_add_f32_e32 v4, v4, v116
	v_dual_mov_b32 v0, v136 :: v_dual_mov_b32 v1, v137
	v_dual_mov_b32 v136, v148 :: v_dual_mov_b32 v17, v152
	v_add_f32_e32 v4, v5, v4
	v_fmamk_f32 v5, v77, 0xbf4c4adb, v209
	v_dual_mov_b32 v2, v153 :: v_dual_mul_f32 v153, 0x3f6eb680, v103
	v_mov_b32_e32 v37, v253
	s_delay_alu instid0(VALU_DEP_3) | instskip(SKIP_3) | instid1(VALU_DEP_3)
	v_dual_mov_b32 v253, v155 :: v_dual_add_f32 v4, v5, v4
	v_dual_fmamk_f32 v5, v76, 0x3eb8f4ab, v210 :: v_dual_mov_b32 v252, v154
	v_mul_f32_e32 v155, 0x3dbcf732, v109
	v_dual_mul_f32 v154, 0x3eb8f4ab, v128 :: v_dual_mov_b32 v27, v163
	v_add_f32_e32 v4, v5, v4
	v_fmamk_f32 v5, v105, 0x3e3c28d5, v211
	v_dual_mul_f32 v128, 0xbe3c28d5, v128 :: v_dual_fmac_f32 v211, 0xbe3c28d5, v105
	v_dual_mov_b32 v25, v161 :: v_dual_mov_b32 v162, v159
	s_delay_alu instid0(VALU_DEP_3) | instskip(SKIP_3) | instid1(VALU_DEP_3)
	v_dual_mul_f32 v255, 0xbf763a35, v94 :: v_dual_add_f32 v4, v5, v4
	v_fmamk_f32 v5, v23, 0x3ee437d1, v212
	v_dual_fmac_f32 v198, 0x3f65296c, v105 :: v_dual_mov_b32 v161, v158
	v_dual_mov_b32 v160, v157 :: v_dual_mov_b32 v159, v156
	v_dual_add_f32 v5, v5, v130 :: v_dual_mul_f32 v130, 0x3f3d2fb0, v108
	v_fmac_f32_e32 v176, 0x3f2c7751, v77
	v_mul_f32_e32 v156, 0xbf1a4643, v107
	v_mul_f32_e32 v157, 0xbf59a7d5, v108
	;; [unrolled: 1-line block ×3, first 2 shown]
	v_fmamk_f32 v98, v104, 0xbf2c7751, v130
	v_mul_f32_e32 v163, 0xbf7ba420, v103
	v_fma_f32 v103, 0xbe8c1d8e, v6, -v219
	v_fmac_f32_e32 v173, 0x3eb8f4ab, v21
	s_delay_alu instid0(VALU_DEP_4) | instskip(SKIP_4) | instid1(VALU_DEP_4)
	v_dual_fmac_f32 v205, 0x3f7ee86f, v7 :: v_dual_add_f32 v4, v98, v4
	v_fmamk_f32 v98, v22, 0x3dbcf732, v213
	v_fmac_f32_e32 v207, 0x3f65296c, v21
	v_fmac_f32_e32 v209, 0x3f4c4adb, v77
	;; [unrolled: 1-line block ×3, first 2 shown]
	v_dual_add_f32 v5, v98, v5 :: v_dual_fmamk_f32 v98, v79, 0xbf1a4643, v214
	s_delay_alu instid0(VALU_DEP_1) | instskip(SKIP_1) | instid1(VALU_DEP_1)
	v_dual_fmac_f32 v200, 0xbf763a35, v104 :: v_dual_add_f32 v5, v98, v5
	v_fmamk_f32 v98, v78, 0x3f6eb680, v215
	v_dual_add_f32 v5, v98, v5 :: v_dual_fmamk_f32 v98, v93, 0xbf7ba420, v216
	s_delay_alu instid0(VALU_DEP_1) | instskip(NEXT) | instid1(VALU_DEP_1)
	v_dual_add_f32 v5, v98, v5 :: v_dual_fmamk_f32 v98, v92, 0x3f3d2fb0, v217
	v_dual_add_f32 v98, v98, v5 :: v_dual_fmamk_f32 v5, v7, 0x3f763a35, v218
	s_delay_alu instid0(VALU_DEP_1) | instskip(SKIP_2) | instid1(VALU_DEP_2)
	v_add_f32_e32 v192, v5, v4
	v_dual_fmamk_f32 v4, v6, 0xbe8c1d8e, v219 :: v_dual_mov_b32 v5, v181
	v_mul_f32_e32 v181, 0xbf4c4adb, v97
	v_dual_add_f32 v191, v4, v98 :: v_dual_fmamk_f32 v98, v21, 0xbf763a35, v220
	v_dual_mov_b32 v4, v185 :: v_dual_mul_f32 v185, 0x3e3c28d5, v96
	s_delay_alu instid0(VALU_DEP_2) | instskip(NEXT) | instid1(VALU_DEP_1)
	v_add_f32_e32 v98, v98, v117
	v_dual_add_f32 v98, v99, v98 :: v_dual_fmamk_f32 v99, v77, 0x3f06c442, v222
	s_delay_alu instid0(VALU_DEP_1) | instskip(NEXT) | instid1(VALU_DEP_1)
	v_dual_add_f32 v98, v99, v98 :: v_dual_fmamk_f32 v99, v76, 0xbf7ee86f, v223
	v_dual_fmac_f32 v223, 0x3f7ee86f, v76 :: v_dual_add_f32 v98, v99, v98
	v_fmamk_f32 v99, v105, 0x3f2c7751, v224
	s_delay_alu instid0(VALU_DEP_1) | instskip(SKIP_1) | instid1(VALU_DEP_1)
	v_add_f32_e32 v98, v99, v98
	v_fmamk_f32 v99, v23, 0xbe8c1d8e, v225
	v_add_f32_e32 v99, v99, v131
	v_mul_f32_e32 v131, 0xbf7ba420, v108
	s_delay_alu instid0(VALU_DEP_1) | instskip(NEXT) | instid1(VALU_DEP_1)
	v_fmamk_f32 v111, v104, 0x3e3c28d5, v131
	v_dual_fmac_f32 v131, 0xbe3c28d5, v104 :: v_dual_add_f32 v98, v111, v98
	v_fmamk_f32 v111, v22, 0x3f6eb680, v226
	s_delay_alu instid0(VALU_DEP_1) | instskip(SKIP_1) | instid1(VALU_DEP_1)
	v_dual_fmac_f32 v210, 0xbeb8f4ab, v76 :: v_dual_add_f32 v99, v111, v99
	v_fmamk_f32 v111, v79, 0xbf59a7d5, v227
	v_add_f32_e32 v99, v111, v99
	v_fmamk_f32 v111, v78, 0x3dbcf732, v228
	s_delay_alu instid0(VALU_DEP_1) | instskip(SKIP_1) | instid1(VALU_DEP_1)
	v_dual_fmac_f32 v208, 0xbf7ee86f, v20 :: v_dual_add_f32 v99, v111, v99
	v_fmamk_f32 v111, v93, 0x3f3d2fb0, v229
	v_dual_fmac_f32 v130, 0x3f2c7751, v104 :: v_dual_add_f32 v99, v111, v99
	v_fmamk_f32 v111, v92, 0xbf7ba420, v230
	s_delay_alu instid0(VALU_DEP_1) | instskip(SKIP_2) | instid1(VALU_DEP_2)
	v_add_f32_e32 v111, v111, v99
	v_fmamk_f32 v99, v7, 0xbf65296c, v231
	v_fmac_f32_e32 v231, 0x3f65296c, v7
	v_dual_add_f32 v99, v99, v98 :: v_dual_fmamk_f32 v98, v6, 0x3ee437d1, v232
	s_delay_alu instid0(VALU_DEP_1) | instskip(SKIP_1) | instid1(VALU_DEP_2)
	v_dual_add_f32 v98, v98, v111 :: v_dual_fmamk_f32 v111, v21, 0xbf06c442, v233
	v_fmac_f32_e32 v233, 0x3f06c442, v21
	v_add_f32_e32 v111, v111, v118
	s_delay_alu instid0(VALU_DEP_1) | instskip(SKIP_1) | instid1(VALU_DEP_2)
	v_dual_add_f32 v111, v112, v111 :: v_dual_fmamk_f32 v112, v77, 0x3f65296c, v235
	v_fmac_f32_e32 v235, 0xbf65296c, v77
	v_add_f32_e32 v111, v112, v111
	v_fmamk_f32 v112, v76, 0x3e3c28d5, v236
	s_delay_alu instid0(VALU_DEP_1) | instskip(NEXT) | instid1(VALU_DEP_1)
	v_dual_add_f32 v111, v112, v111 :: v_dual_fmamk_f32 v112, v105, 0xbf7ee86f, v237
	v_dual_add_f32 v111, v112, v111 :: v_dual_fmamk_f32 v112, v23, 0xbf59a7d5, v238
	s_delay_alu instid0(VALU_DEP_1) | instskip(SKIP_1) | instid1(VALU_DEP_1)
	v_add_f32_e32 v112, v112, v132
	v_mul_f32_e32 v132, 0x3f6eb680, v108
	v_fmamk_f32 v113, v104, 0x3eb8f4ab, v132
	s_delay_alu instid0(VALU_DEP_1) | instskip(SKIP_1) | instid1(VALU_DEP_1)
	v_add_f32_e32 v111, v113, v111
	v_fmamk_f32 v113, v22, 0x3f3d2fb0, v239
	v_dual_add_f32 v112, v113, v112 :: v_dual_fmamk_f32 v113, v79, 0x3ee437d1, v240
	s_delay_alu instid0(VALU_DEP_1) | instskip(SKIP_1) | instid1(VALU_DEP_1)
	v_dual_fmac_f32 v237, 0x3f7ee86f, v105 :: v_dual_add_f32 v112, v113, v112
	v_fmamk_f32 v113, v78, 0xbf7ba420, v241
	v_add_f32_e32 v112, v113, v112
	v_fmamk_f32 v113, v93, 0x3dbcf732, v242
	s_delay_alu instid0(VALU_DEP_1) | instskip(SKIP_1) | instid1(VALU_DEP_2)
	v_dual_add_f32 v112, v113, v112 :: v_dual_fmamk_f32 v113, v92, 0x3f6eb680, v243
	v_fmac_f32_e32 v132, 0xbeb8f4ab, v104
	v_dual_add_f32 v113, v113, v112 :: v_dual_fmamk_f32 v112, v7, 0x3f4c4adb, v244
	v_fmac_f32_e32 v218, 0xbf763a35, v7
	v_mul_f32_e32 v158, 0xbf2c7751, v97
	s_delay_alu instid0(VALU_DEP_3) | instskip(NEXT) | instid1(VALU_DEP_2)
	v_dual_add_f32 v112, v112, v111 :: v_dual_fmamk_f32 v111, v6, 0xbf1a4643, v245
	v_fmamk_f32 v97, v23, 0x3f3d2fb0, v158
	s_delay_alu instid0(VALU_DEP_2) | instskip(SKIP_1) | instid1(VALU_DEP_3)
	v_add_f32_e32 v111, v111, v113
	v_fmamk_f32 v113, v21, 0x3e3c28d5, v246
	v_add_f32_e32 v97, v97, v175
	v_mul_f32_e32 v175, 0xbf65296c, v96
	s_delay_alu instid0(VALU_DEP_3) | instskip(SKIP_2) | instid1(VALU_DEP_2)
	v_add_f32_e32 v113, v113, v119
	v_mul_f32_e32 v119, 0xbe8c1d8e, v102
	v_fmac_f32_e32 v220, 0x3f763a35, v21
	v_fmamk_f32 v114, v20, 0xbf763a35, v119
	v_fmac_f32_e32 v119, 0x3f763a35, v20
	s_delay_alu instid0(VALU_DEP_2) | instskip(SKIP_1) | instid1(VALU_DEP_2)
	v_dual_add_f32 v113, v114, v113 :: v_dual_fmamk_f32 v114, v77, 0xbeb8f4ab, v247
	v_fmac_f32_e32 v247, 0x3eb8f4ab, v77
	v_dual_add_f32 v113, v114, v113 :: v_dual_fmamk_f32 v114, v76, 0x3f65296c, v248
	v_fma_f32 v107, 0x3ee437d1, v6, -v232
	s_delay_alu instid0(VALU_DEP_2) | instskip(SKIP_1) | instid1(VALU_DEP_2)
	v_dual_add_f32 v113, v114, v113 :: v_dual_fmamk_f32 v114, v105, 0x3f06c442, v249
	v_fmac_f32_e32 v249, 0xbf06c442, v105
	v_dual_fmac_f32 v234, 0x3f2c7751, v20 :: v_dual_add_f32 v113, v114, v113
	v_fmamk_f32 v114, v23, 0xbf7ba420, v250
	s_delay_alu instid0(VALU_DEP_1) | instskip(NEXT) | instid1(VALU_DEP_1)
	v_dual_add_f32 v114, v114, v133 :: v_dual_mul_f32 v133, 0xbf1a4643, v108
	v_dual_fmac_f32 v244, 0xbf4c4adb, v7 :: v_dual_fmamk_f32 v115, v104, 0xbf4c4adb, v133
	v_fmac_f32_e32 v133, 0x3f4c4adb, v104
	s_delay_alu instid0(VALU_DEP_2) | instskip(SKIP_1) | instid1(VALU_DEP_1)
	v_add_f32_e32 v113, v115, v113
	v_fmamk_f32 v115, v22, 0xbe8c1d8e, v251
	v_add_f32_e32 v114, v115, v114
	v_fmamk_f32 v115, v79, 0x3f6eb680, v18
	s_delay_alu instid0(VALU_DEP_1) | instskip(NEXT) | instid1(VALU_DEP_1)
	v_dual_add_f32 v114, v115, v114 :: v_dual_fmamk_f32 v115, v78, 0x3ee437d1, v19
	v_dual_add_f32 v114, v115, v114 :: v_dual_fmamk_f32 v115, v93, 0xbf59a7d5, v150
	v_fma_f32 v109, 0xbf1a4643, v6, -v245
	s_delay_alu instid0(VALU_DEP_2) | instskip(NEXT) | instid1(VALU_DEP_1)
	v_dual_add_f32 v114, v115, v114 :: v_dual_fmamk_f32 v115, v92, 0xbf1a4643, v183
	v_add_f32_e32 v115, v115, v114
	v_fmamk_f32 v114, v7, 0xbf2c7751, v177
	v_fmac_f32_e32 v177, 0x3f2c7751, v7
	v_fmac_f32_e32 v222, 0xbf06c442, v77
	;; [unrolled: 1-line block ×3, first 2 shown]
	s_delay_alu instid0(VALU_DEP_4) | instskip(SKIP_1) | instid1(VALU_DEP_1)
	v_add_f32_e32 v114, v114, v113
	v_fmamk_f32 v113, v6, 0x3f3d2fb0, v179
	v_add_f32_e32 v113, v113, v115
	v_fmamk_f32 v115, v21, 0x3f4c4adb, v182
	s_delay_alu instid0(VALU_DEP_1) | instskip(NEXT) | instid1(VALU_DEP_1)
	v_dual_add_f32 v115, v115, v120 :: v_dual_mul_f32 v120, 0xbf7ba420, v102
	v_fmamk_f32 v116, v20, 0xbe3c28d5, v120
	s_delay_alu instid0(VALU_DEP_1) | instskip(NEXT) | instid1(VALU_DEP_1)
	v_dual_add_f32 v115, v116, v115 :: v_dual_fmamk_f32 v116, v77, 0xbf763a35, v188
	v_add_f32_e32 v115, v116, v115
	v_fmamk_f32 v116, v76, 0xbf2c7751, v189
	s_delay_alu instid0(VALU_DEP_1) | instskip(NEXT) | instid1(VALU_DEP_1)
	v_dual_add_f32 v115, v116, v115 :: v_dual_fmamk_f32 v116, v105, 0x3eb8f4ab, v190
	v_dual_add_f32 v115, v116, v115 :: v_dual_fmamk_f32 v116, v23, 0xbf1a4643, v181
	s_delay_alu instid0(VALU_DEP_1) | instskip(SKIP_1) | instid1(VALU_DEP_1)
	v_add_f32_e32 v116, v116, v134
	v_mul_f32_e32 v134, 0x3dbcf732, v108
	v_fmamk_f32 v117, v104, 0x3f7ee86f, v134
	s_delay_alu instid0(VALU_DEP_1) | instskip(SKIP_2) | instid1(VALU_DEP_2)
	v_add_f32_e32 v115, v117, v115
	v_fmamk_f32 v117, v22, 0xbf7ba420, v185
	v_fmac_f32_e32 v120, 0x3e3c28d5, v20
	v_dual_add_f32 v116, v117, v116 :: v_dual_fmamk_f32 v117, v79, 0xbe8c1d8e, v180
	v_fmac_f32_e32 v188, 0x3f763a35, v77
	s_delay_alu instid0(VALU_DEP_2) | instskip(SKIP_1) | instid1(VALU_DEP_2)
	v_dual_add_f32 v116, v117, v116 :: v_dual_fmamk_f32 v117, v78, 0x3f3d2fb0, v186
	v_fmac_f32_e32 v189, 0x3f2c7751, v76
	v_add_f32_e32 v116, v117, v116
	v_fmamk_f32 v117, v93, 0x3f6eb680, v187
	v_fmac_f32_e32 v190, 0xbeb8f4ab, v105
	v_fmac_f32_e32 v236, 0xbe3c28d5, v76
	s_delay_alu instid0(VALU_DEP_3) | instskip(SKIP_1) | instid1(VALU_DEP_2)
	v_dual_add_f32 v116, v117, v116 :: v_dual_fmamk_f32 v117, v92, 0x3dbcf732, v138
	v_fmac_f32_e32 v134, 0xbf7ee86f, v104
	v_dual_add_f32 v117, v117, v116 :: v_dual_fmamk_f32 v116, v7, 0x3f06c442, v139
	v_fmac_f32_e32 v139, 0xbf06c442, v7
	s_delay_alu instid0(VALU_DEP_2) | instskip(NEXT) | instid1(VALU_DEP_1)
	v_dual_add_f32 v116, v116, v115 :: v_dual_fmamk_f32 v115, v6, 0xbf59a7d5, v140
	v_add_f32_e32 v115, v115, v117
	v_fmamk_f32 v117, v21, 0x3f7ee86f, v141
	v_fmac_f32_e32 v141, 0xbf7ee86f, v21
	s_delay_alu instid0(VALU_DEP_2) | instskip(SKIP_1) | instid1(VALU_DEP_1)
	v_add_f32_e32 v117, v117, v121
	v_mul_f32_e32 v121, 0xbf1a4643, v102
	v_fmamk_f32 v118, v20, 0x3f4c4adb, v121
	v_fmac_f32_e32 v121, 0xbf4c4adb, v20
	s_delay_alu instid0(VALU_DEP_2) | instskip(SKIP_1) | instid1(VALU_DEP_2)
	v_dual_add_f32 v117, v118, v117 :: v_dual_fmamk_f32 v118, v77, 0x3e3c28d5, v142
	v_fmac_f32_e32 v142, 0xbe3c28d5, v77
	v_dual_fmac_f32 v248, 0xbf65296c, v76 :: v_dual_add_f32 v117, v118, v117
	v_fmamk_f32 v118, v76, 0xbf06c442, v143
	v_fmac_f32_e32 v143, 0x3f06c442, v76
	s_delay_alu instid0(VALU_DEP_2) | instskip(NEXT) | instid1(VALU_DEP_1)
	v_dual_add_f32 v117, v118, v117 :: v_dual_fmamk_f32 v118, v105, 0xbf763a35, v144
	v_dual_add_f32 v117, v118, v117 :: v_dual_fmamk_f32 v118, v23, 0x3dbcf732, v145
	s_delay_alu instid0(VALU_DEP_1) | instskip(SKIP_2) | instid1(VALU_DEP_1)
	v_dual_add_f32 v118, v118, v135 :: v_dual_mul_f32 v135, 0x3ee437d1, v108
	scratch_load_b32 v108, off, off offset:112 th:TH_LOAD_LU ; 4-byte Folded Reload
	v_fmamk_f32 v146, v104, 0xbf65296c, v135
	v_dual_add_f32 v117, v146, v117 :: v_dual_mul_f32 v146, 0xbf4c4adb, v96
	v_fmamk_f32 v96, v22, 0x3ee437d1, v175
	s_delay_alu instid0(VALU_DEP_1) | instskip(SKIP_1) | instid1(VALU_DEP_2)
	v_dual_fmamk_f32 v147, v22, 0xbf1a4643, v146 :: v_dual_add_f32 v96, v96, v97
	v_fmamk_f32 v97, v79, 0x3dbcf732, v254
	v_dual_add_f32 v118, v147, v118 :: v_dual_mul_f32 v147, 0xbe3c28d5, v101
	v_mov_b32_e32 v137, v149
	s_delay_alu instid0(VALU_DEP_3)
	v_add_f32_e32 v96, v97, v96
	v_fma_f32 v97, 0x3f6eb680, v23, -v199
	v_fma_f32 v101, 0x3dbcf732, v6, -v206
	v_fmamk_f32 v148, v79, 0xbf7ba420, v147
	v_fmac_f32_e32 v135, 0x3f65296c, v104
	v_fmac_f32_e32 v182, 0xbf4c4adb, v21
	;; [unrolled: 1-line block ×3, first 2 shown]
	s_delay_alu instid0(VALU_DEP_4) | instskip(SKIP_2) | instid1(VALU_DEP_2)
	v_add_f32_e32 v118, v148, v118
	v_mul_f32_e32 v148, 0x3f06c442, v94
	v_fmamk_f32 v94, v78, 0xbe8c1d8e, v255
	v_fmamk_f32 v149, v78, 0xbf59a7d5, v148
	s_delay_alu instid0(VALU_DEP_1) | instskip(SKIP_3) | instid1(VALU_DEP_1)
	v_add_f32_e32 v118, v149, v118
	v_mul_f32_e32 v149, 0x3f763a35, v106
	scratch_load_b32 v106, off, off offset:120 th:TH_LOAD_LU ; 4-byte Folded Reload
	v_fmamk_f32 v151, v93, 0xbe8c1d8e, v149
	v_dual_add_f32 v118, v151, v118 :: v_dual_mul_f32 v151, 0x3f65296c, v95
	v_dual_fmamk_f32 v95, v92, 0xbf59a7d5, v3 :: v_dual_add_f32 v94, v94, v96
	v_fmamk_f32 v96, v93, 0xbf1a4643, v172
	s_delay_alu instid0(VALU_DEP_3) | instskip(NEXT) | instid1(VALU_DEP_2)
	v_fmamk_f32 v152, v92, 0x3ee437d1, v151
	v_add_f32_e32 v94, v96, v94
	v_fmamk_f32 v96, v6, 0xbf7ba420, v128
	s_delay_alu instid0(VALU_DEP_3) | instskip(SKIP_1) | instid1(VALU_DEP_4)
	v_add_f32_e32 v152, v152, v118
	v_fmamk_f32 v118, v7, 0xbeb8f4ab, v153
	v_dual_fmac_f32 v153, 0x3eb8f4ab, v7 :: v_dual_add_f32 v94, v95, v94
	v_fmamk_f32 v95, v7, 0x3e3c28d5, v163
	s_delay_alu instid0(VALU_DEP_3) | instskip(NEXT) | instid1(VALU_DEP_3)
	v_dual_fmac_f32 v163, 0xbe3c28d5, v7 :: v_dual_add_f32 v118, v118, v117
	v_dual_fmamk_f32 v117, v6, 0x3f6eb680, v154 :: v_dual_add_f32 v94, v96, v94
	v_add_f32_e32 v96, v173, v184
	s_delay_alu instid0(VALU_DEP_2) | instskip(SKIP_1) | instid1(VALU_DEP_3)
	v_dual_fmac_f32 v144, 0x3f763a35, v105 :: v_dual_add_f32 v117, v117, v152
	v_mul_f32_e32 v152, 0x3f3d2fb0, v100
	v_add_f32_e32 v96, v174, v96
	s_delay_alu instid0(VALU_DEP_2) | instskip(NEXT) | instid1(VALU_DEP_2)
	v_fmamk_f32 v100, v21, 0x3f2c7751, v152
	v_add_f32_e32 v96, v176, v96
	v_fmac_f32_e32 v152, 0xbf2c7751, v21
	s_delay_alu instid0(VALU_DEP_3) | instskip(SKIP_1) | instid1(VALU_DEP_4)
	v_add_f32_e32 v100, v100, v122
	v_mul_f32_e32 v122, 0x3ee437d1, v102
	v_add_f32_e32 v96, v197, v96
	s_delay_alu instid0(VALU_DEP_2) | instskip(NEXT) | instid1(VALU_DEP_2)
	v_fmamk_f32 v102, v20, 0x3f65296c, v122
	v_add_f32_e32 v96, v198, v96
	s_delay_alu instid0(VALU_DEP_2) | instskip(SKIP_1) | instid1(VALU_DEP_3)
	v_add_f32_e32 v100, v102, v100
	v_fmamk_f32 v102, v77, 0x3f7ee86f, v155
	v_dual_add_f32 v96, v200, v96 :: v_dual_fmac_f32 v155, 0xbf7ee86f, v77
	v_fma_f32 v77, 0xbf59a7d5, v78, -v148
	s_delay_alu instid0(VALU_DEP_3) | instskip(SKIP_4) | instid1(VALU_DEP_4)
	v_add_f32_e32 v100, v102, v100
	v_fmamk_f32 v102, v76, 0x3f763a35, v110
	v_fmac_f32_e32 v110, 0xbf763a35, v76
	v_fma_f32 v76, 0xbe8c1d8e, v93, -v149
	v_dual_mov_b32 v149, v137 :: v_dual_mov_b32 v148, v136
	v_add_f32_e32 v100, v102, v100
	v_fmamk_f32 v102, v105, 0x3f4c4adb, v156
	v_dual_mov_b32 v137, v1 :: v_dual_mov_b32 v136, v0
	scratch_load_b32 v0, off, off offset:128 th:TH_LOAD_LU ; 4-byte Folded Reload
	v_add_f32_e32 v100, v102, v100
	v_fmamk_f32 v102, v104, 0x3f06c442, v157
	v_fmac_f32_e32 v157, 0xbf06c442, v104
	s_delay_alu instid0(VALU_DEP_2)
	v_add_f32_e32 v100, v102, v100
	scratch_load_b32 v102, off, off offset:132 th:TH_LOAD_LU ; 4-byte Folded Reload
	v_add_f32_e32 v95, v95, v100
	scratch_load_b32 v100, off, off offset:140 th:TH_LOAD_LU ; 4-byte Folded Reload
	s_wait_loadcnt 0x0
	v_add_f32_e32 v97, v97, v100
	v_fma_f32 v100, 0xbf59a7d5, v22, -v129
	s_delay_alu instid0(VALU_DEP_1) | instskip(SKIP_1) | instid1(VALU_DEP_1)
	v_add_f32_e32 v97, v100, v97
	v_fma_f32 v100, 0x3f3d2fb0, v79, -v201
	v_add_f32_e32 v97, v100, v97
	v_fma_f32 v100, 0xbf1a4643, v78, -v202
	v_fmac_f32_e32 v156, 0xbf4c4adb, v105
	s_delay_alu instid0(VALU_DEP_2) | instskip(SKIP_1) | instid1(VALU_DEP_1)
	v_add_f32_e32 v97, v100, v97
	v_fma_f32 v100, 0x3ee437d1, v93, -v203
	v_add_f32_e32 v97, v100, v97
	v_fma_f32 v100, 0xbe8c1d8e, v92, -v204
	s_delay_alu instid0(VALU_DEP_1) | instskip(NEXT) | instid1(VALU_DEP_1)
	v_dual_add_f32 v100, v100, v97 :: v_dual_add_f32 v97, v205, v96
	v_add_f32_e32 v96, v101, v100
	scratch_load_b32 v100, off, off offset:136 th:TH_LOAD_LU ; 4-byte Folded Reload
	v_fma_f32 v101, 0x3ee437d1, v23, -v212
	s_delay_alu instid0(VALU_DEP_1) | instskip(SKIP_1) | instid1(VALU_DEP_1)
	v_add_f32_e32 v101, v101, v102
	v_fma_f32 v102, 0x3dbcf732, v22, -v213
	v_add_f32_e32 v101, v102, v101
	v_fma_f32 v102, 0xbf1a4643, v79, -v214
	s_delay_alu instid0(VALU_DEP_1) | instskip(SKIP_1) | instid1(VALU_DEP_1)
	v_add_f32_e32 v101, v102, v101
	v_fma_f32 v102, 0x3f6eb680, v78, -v215
	v_add_f32_e32 v101, v102, v101
	;; [unrolled: 5-line block ×3, first 2 shown]
	s_wait_loadcnt 0x0
	v_add_f32_e32 v100, v207, v100
	s_delay_alu instid0(VALU_DEP_1) | instskip(NEXT) | instid1(VALU_DEP_1)
	v_add_f32_e32 v100, v208, v100
	v_add_f32_e32 v100, v209, v100
	s_delay_alu instid0(VALU_DEP_1) | instskip(NEXT) | instid1(VALU_DEP_1)
	v_add_f32_e32 v100, v210, v100
	;; [unrolled: 3-line block ×3, first 2 shown]
	v_dual_add_f32 v101, v218, v100 :: v_dual_add_f32 v100, v103, v102
	scratch_load_b32 v102, off, off offset:124 th:TH_LOAD_LU ; 4-byte Folded Reload
	v_fma_f32 v103, 0xbe8c1d8e, v23, -v225
	v_fma_f32 v21, 0x3f3d2fb0, v23, -v158
	s_delay_alu instid0(VALU_DEP_2) | instskip(SKIP_1) | instid1(VALU_DEP_1)
	v_add_f32_e32 v103, v103, v106
	v_fma_f32 v106, 0x3f6eb680, v22, -v226
	v_add_f32_e32 v103, v106, v103
	v_fma_f32 v106, 0xbf59a7d5, v79, -v227
	s_delay_alu instid0(VALU_DEP_1) | instskip(SKIP_1) | instid1(VALU_DEP_1)
	v_add_f32_e32 v103, v106, v103
	v_fma_f32 v106, 0x3dbcf732, v78, -v228
	v_add_f32_e32 v103, v106, v103
	v_fma_f32 v106, 0x3f3d2fb0, v93, -v229
	s_delay_alu instid0(VALU_DEP_1) | instskip(SKIP_1) | instid1(VALU_DEP_1)
	v_add_f32_e32 v103, v106, v103
	v_fma_f32 v106, 0xbf7ba420, v92, -v230
	v_add_f32_e32 v106, v106, v103
	s_wait_loadcnt 0x0
	v_add_f32_e32 v102, v220, v102
	s_delay_alu instid0(VALU_DEP_1) | instskip(NEXT) | instid1(VALU_DEP_1)
	v_add_f32_e32 v102, v221, v102
	v_add_f32_e32 v102, v222, v102
	s_delay_alu instid0(VALU_DEP_1) | instskip(NEXT) | instid1(VALU_DEP_1)
	v_add_f32_e32 v102, v223, v102
	;; [unrolled: 3-line block ×3, first 2 shown]
	v_add_f32_e32 v103, v231, v102
	v_add_f32_e32 v102, v107, v106
	scratch_load_b32 v106, off, off offset:116 th:TH_LOAD_LU ; 4-byte Folded Reload
	v_fma_f32 v107, 0xbf59a7d5, v23, -v238
	s_delay_alu instid0(VALU_DEP_1) | instskip(SKIP_1) | instid1(VALU_DEP_1)
	v_add_f32_e32 v107, v107, v108
	v_fma_f32 v108, 0x3f3d2fb0, v22, -v239
	v_add_f32_e32 v107, v108, v107
	v_fma_f32 v108, 0x3ee437d1, v79, -v240
	s_delay_alu instid0(VALU_DEP_1) | instskip(SKIP_1) | instid1(VALU_DEP_1)
	v_add_f32_e32 v107, v108, v107
	v_fma_f32 v108, 0xbf7ba420, v78, -v241
	v_add_f32_e32 v107, v108, v107
	v_fma_f32 v108, 0x3dbcf732, v93, -v242
	s_delay_alu instid0(VALU_DEP_1) | instskip(SKIP_1) | instid1(VALU_DEP_1)
	v_add_f32_e32 v107, v108, v107
	v_fma_f32 v108, 0x3f6eb680, v92, -v243
	v_add_f32_e32 v108, v108, v107
	s_wait_loadcnt 0x0
	v_add_f32_e32 v106, v233, v106
	s_delay_alu instid0(VALU_DEP_1) | instskip(NEXT) | instid1(VALU_DEP_1)
	v_add_f32_e32 v106, v234, v106
	v_add_f32_e32 v106, v235, v106
	s_delay_alu instid0(VALU_DEP_1) | instskip(NEXT) | instid1(VALU_DEP_1)
	v_add_f32_e32 v106, v236, v106
	v_add_f32_e32 v106, v237, v106
	s_delay_alu instid0(VALU_DEP_1) | instskip(NEXT) | instid1(VALU_DEP_1)
	v_add_f32_e32 v106, v132, v106
	v_dual_add_f32 v107, v244, v106 :: v_dual_add_f32 v106, v109, v108
	scratch_load_b32 v108, off, off offset:108 th:TH_LOAD_LU ; 4-byte Folded Reload
	v_fma_f32 v109, 0xbf7ba420, v23, -v250
	s_wait_loadcnt 0x0
	v_add_f32_e32 v108, v246, v108
	s_delay_alu instid0(VALU_DEP_1) | instskip(SKIP_2) | instid1(VALU_DEP_1)
	v_add_f32_e32 v108, v119, v108
	scratch_load_b32 v119, off, off offset:104 th:TH_LOAD_LU ; 4-byte Folded Reload
	v_add_f32_e32 v108, v247, v108
	v_add_f32_e32 v108, v248, v108
	s_delay_alu instid0(VALU_DEP_1) | instskip(NEXT) | instid1(VALU_DEP_1)
	v_add_f32_e32 v108, v249, v108
	v_add_f32_e32 v108, v133, v108
	s_wait_loadcnt 0x0
	v_add_f32_e32 v109, v109, v119
	v_fma_f32 v119, 0xbe8c1d8e, v22, -v251
	s_delay_alu instid0(VALU_DEP_1) | instskip(SKIP_4) | instid1(VALU_DEP_1)
	v_add_f32_e32 v109, v119, v109
	v_fma_f32 v119, 0x3f6eb680, v79, -v18
	scratch_load_b32 v18, off, off offset:100 th:TH_LOAD_LU ; 4-byte Folded Reload
	v_add_f32_e32 v109, v119, v109
	v_fma_f32 v119, 0x3ee437d1, v78, -v19
	v_add_f32_e32 v109, v119, v109
	v_fma_f32 v119, 0xbf59a7d5, v93, -v150
	v_mov_b32_e32 v150, v123
	v_fma_f32 v123, 0x3f3d2fb0, v6, -v179
	s_delay_alu instid0(VALU_DEP_3) | instskip(SKIP_2) | instid1(VALU_DEP_2)
	v_add_f32_e32 v109, v119, v109
	v_fma_f32 v119, 0xbf1a4643, v92, -v183
	v_mov_b32_e32 v183, v91
	v_add_f32_e32 v119, v119, v109
	s_delay_alu instid0(VALU_DEP_1)
	v_dual_add_f32 v109, v177, v108 :: v_dual_add_f32 v108, v123, v119
	v_fma_f32 v123, 0xbf1a4643, v23, -v181
	v_mov_b32_e32 v181, v5
	scratch_load_b32 v5, off, off offset:96 th:TH_LOAD_LU ; 4-byte Folded Reload
	s_wait_loadcnt 0x1
	v_add_f32_e32 v119, v182, v18
	s_delay_alu instid0(VALU_DEP_1)
	v_dual_mov_b32 v182, v90 :: v_dual_add_f32 v119, v120, v119
	v_fma_f32 v120, 0xbf7ba420, v22, -v185
	v_mov_b32_e32 v185, v4
	scratch_load_b32 v4, off, off offset:92 th:TH_LOAD_LU ; 4-byte Folded Reload
	s_wait_loadcnt 0x0
	v_add_f32_e32 v91, v141, v4
	scratch_load_b32 v4, off, off offset:88 th:TH_LOAD_LU ; 4-byte Folded Reload
	v_add_f32_e32 v91, v121, v91
	v_fma_f32 v121, 0x3dbcf732, v23, -v145
	v_fma_f32 v23, 0xbf1a4643, v22, -v146
	s_delay_alu instid0(VALU_DEP_3) | instskip(NEXT) | instid1(VALU_DEP_1)
	v_add_f32_e32 v91, v142, v91
	v_dual_add_f32 v91, v143, v91 :: v_dual_mov_b32 v142, v168
	v_mov_b32_e32 v143, v169
	v_dual_mov_b32 v169, v31 :: v_dual_mov_b32 v168, v30
	s_delay_alu instid0(VALU_DEP_3) | instskip(SKIP_2) | instid1(VALU_DEP_3)
	v_dual_add_f32 v91, v144, v91 :: v_dual_mov_b32 v144, v170
	v_mov_b32_e32 v145, v171
	v_dual_mov_b32 v171, v33 :: v_dual_mov_b32 v170, v32
	v_dual_add_f32 v91, v135, v91 :: v_dual_mov_b32 v30, v40
	v_mov_b32_e32 v33, v43
	v_add_f32_e32 v119, v188, v119
	v_dual_mov_b32 v31, v41 :: v_dual_fmac_f32 v122, 0xbf65296c, v20
	s_delay_alu instid0(VALU_DEP_4) | instskip(SKIP_1) | instid1(VALU_DEP_4)
	v_add_f32_e32 v7, v153, v91
	v_mov_b32_e32 v153, v2
	v_dual_add_f32 v119, v189, v119 :: v_dual_mov_b32 v32, v42
	s_delay_alu instid0(VALU_DEP_1) | instskip(SKIP_1) | instid1(VALU_DEP_1)
	v_add_f32_e32 v119, v190, v119
	s_wait_loadcnt 0x0
	v_dual_add_f32 v119, v134, v119 :: v_dual_add_f32 v90, v121, v4
	scratch_load_b32 v4, off, off offset:80 th:TH_LOAD_LU ; 4-byte Folded Reload
	v_dual_add_f32 v123, v123, v5 :: v_dual_mov_b32 v188, v124
	v_fma_f32 v124, 0xbf59a7d5, v6, -v140
	s_delay_alu instid0(VALU_DEP_2) | instskip(SKIP_2) | instid1(VALU_DEP_2)
	v_dual_add_f32 v23, v23, v90 :: v_dual_add_f32 v120, v120, v123
	v_fma_f32 v123, 0xbe8c1d8e, v79, -v180
	v_dual_mov_b32 v180, v35 :: v_dual_mov_b32 v179, v34
	v_add_f32_e32 v120, v123, v120
	v_fma_f32 v123, 0x3f3d2fb0, v78, -v186
	v_mov_b32_e32 v186, v38
	s_delay_alu instid0(VALU_DEP_2) | instskip(SKIP_2) | instid1(VALU_DEP_2)
	v_add_f32_e32 v120, v123, v120
	v_fma_f32 v123, 0x3f6eb680, v93, -v187
	v_mov_b32_e32 v187, v39
	v_add_f32_e32 v120, v123, v120
	v_fma_f32 v123, 0x3dbcf732, v92, -v138
	s_delay_alu instid0(VALU_DEP_1) | instskip(SKIP_1) | instid1(VALU_DEP_2)
	v_add_f32_e32 v123, v123, v120
	v_dual_add_f32 v120, v139, v119 :: v_dual_mov_b32 v139, v89
	v_add_f32_e32 v119, v124, v123
	s_wait_loadcnt 0x0
	v_add_f32_e32 v89, v152, v4
	scratch_load_b32 v4, off, off offset:84 th:TH_LOAD_LU ; 4-byte Folded Reload
	s_wait_loadcnt 0x0
	v_add_f32_e32 v20, v21, v4
	v_fma_f32 v21, 0x3ee437d1, v22, -v175
	v_fma_f32 v22, 0xbf7ba420, v79, -v147
	s_delay_alu instid0(VALU_DEP_2) | instskip(NEXT) | instid1(VALU_DEP_2)
	v_dual_mov_b32 v147, v127 :: v_dual_add_f32 v20, v21, v20
	v_add_f32_e32 v22, v22, v23
	v_add_f32_e32 v23, v122, v89
	v_fma_f32 v21, 0x3dbcf732, v79, -v254
	s_delay_alu instid0(VALU_DEP_2) | instskip(NEXT) | instid1(VALU_DEP_2)
	v_dual_add_f32 v23, v155, v23 :: v_dual_mov_b32 v138, v88
	v_add_f32_e32 v20, v21, v20
	v_fma_f32 v21, 0xbe8c1d8e, v78, -v255
	v_lshl_add_u32 v78, v0, 3, v125
	s_delay_alu instid0(VALU_DEP_4) | instskip(SKIP_4) | instid1(VALU_DEP_1)
	v_add_f32_e32 v23, v110, v23
	v_dual_mov_b32 v140, v166 :: v_dual_mov_b32 v141, v167
	v_dual_mov_b32 v167, v29 :: v_dual_mov_b32 v166, v28
	v_add_f32_e32 v20, v21, v20
	v_fma_f32 v21, 0xbf1a4643, v93, -v172
	v_dual_add_f32 v23, v156, v23 :: v_dual_add_f32 v20, v21, v20
	v_fma_f32 v21, 0xbf59a7d5, v92, -v3
	s_delay_alu instid0(VALU_DEP_2) | instskip(SKIP_2) | instid1(VALU_DEP_3)
	v_dual_add_f32 v23, v157, v23 :: v_dual_mov_b32 v156, v159
	v_dual_mov_b32 v157, v160 :: v_dual_mov_b32 v158, v161
	v_dual_mov_b32 v146, v126 :: v_dual_mov_b32 v159, v162
	v_dual_add_f32 v20, v21, v20 :: v_dual_add_f32 v21, v163, v23
	v_dual_mov_b32 v163, v27 :: v_dual_add_f32 v22, v77, v22
	v_dual_mov_b32 v161, v25 :: v_dual_mov_b32 v160, v24
	v_fma_f32 v77, 0xbf7ba420, v6, -v128
	v_mov_b32_e32 v162, v26
	s_delay_alu instid0(VALU_DEP_4) | instskip(SKIP_3) | instid1(VALU_DEP_3)
	v_add_f32_e32 v22, v76, v22
	v_fma_f32 v76, 0x3ee437d1, v92, -v151
	v_dual_mov_b32 v152, v17 :: v_dual_mov_b32 v151, v16
	v_add_f32_e32 v20, v77, v20
	v_add_f32_e32 v22, v76, v22
	v_fma_f32 v76, 0x3f6eb680, v6, -v154
	v_dual_mov_b32 v154, v252 :: v_dual_mov_b32 v155, v253
	v_dual_mov_b32 v253, v37 :: v_dual_mov_b32 v252, v36
	s_delay_alu instid0(VALU_DEP_3)
	v_add_f32_e32 v6, v76, v22
	ds_store_2addr_b64 v78, v[195:196], v[94:95] offset1:1
	ds_store_2addr_b64 v78, v[117:118], v[115:116] offset0:2 offset1:3
	ds_store_2addr_b64 v78, v[113:114], v[111:112] offset0:4 offset1:5
	;; [unrolled: 1-line block ×7, first 2 shown]
	ds_store_b64 v78, v[20:21] offset:128
.LBB0_13:
	s_wait_alu 0xfffe
	s_or_b32 exec_lo, exec_lo, s0
	global_wb scope:SCOPE_SE
	s_wait_storecnt_dscnt 0x0
	s_barrier_signal -1
	s_barrier_wait -1
	global_inv scope:SCOPE_SE
	ds_load_2addr_b64 v[0:3], v178 offset0:68 offset1:85
	ds_load_2addr_b64 v[88:91], v178 offset0:170 offset1:187
	;; [unrolled: 1-line block ×3, first 2 shown]
	v_add_nc_u32_e32 v76, 0x800, v178
	s_mov_b32 s2, 0xace01346
	s_mov_b32 s3, 0x3f634679
	s_wait_dscnt 0x2
	v_mul_f32_e32 v79, v13, v3
	ds_load_2addr_b64 v[20:23], v178 offset1:17
	ds_load_2addr_b64 v[96:99], v178 offset0:102 offset1:119
	ds_load_2addr_b64 v[100:103], v76 offset0:84 offset1:101
	;; [unrolled: 1-line block ×5, first 2 shown]
	ds_load_b64 v[77:78], v178 offset:3264
	ds_load_2addr_b64 v[112:115], v76 offset0:16 offset1:33
	ds_load_2addr_b64 v[116:119], v76 offset0:118 offset1:135
	;; [unrolled: 1-line block ×3, first 2 shown]
	s_wait_dscnt 0xb
	v_dual_mul_f32 v124, v13, v2 :: v_dual_mul_f32 v125, v15, v89
	s_wait_dscnt 0xa
	v_dual_mul_f32 v126, v15, v88 :: v_dual_mul_f32 v127, v9, v95
	v_mul_f32_e32 v128, v9, v94
	v_fmac_f32_e32 v79, v12, v2
	v_fmac_f32_e32 v125, v14, v88
	s_delay_alu instid0(VALU_DEP_4)
	v_fma_f32 v88, v14, v89, -v126
	v_fmac_f32_e32 v127, v8, v94
	v_fma_f32 v89, v8, v95, -v128
	s_wait_dscnt 0x8
	v_dual_mul_f32 v126, v15, v91 :: v_dual_mul_f32 v95, v13, v97
	s_wait_dscnt 0x7
	v_mul_f32_e32 v94, v11, v101
	v_mul_f32_e32 v2, v11, v100
	v_fma_f32 v124, v12, v3, -v124
	v_dual_mul_f32 v3, v13, v96 :: v_dual_fmac_f32 v126, v14, v90
	s_delay_alu instid0(VALU_DEP_4) | instskip(NEXT) | instid1(VALU_DEP_4)
	v_fmac_f32_e32 v94, v10, v100
	v_fma_f32 v100, v10, v101, -v2
	v_dual_fmac_f32 v95, v12, v96 :: v_dual_mul_f32 v2, v15, v90
	s_delay_alu instid0(VALU_DEP_4)
	v_fma_f32 v96, v12, v97, -v3
	s_wait_dscnt 0x2
	v_dual_mul_f32 v90, v9, v113 :: v_dual_mul_f32 v97, v11, v103
	s_wait_dscnt 0x0
	v_mul_f32_e32 v26, v31, v123
	v_fma_f32 v91, v14, v91, -v2
	scratch_load_b128 v[13:16], off, off offset:64 th:TH_LOAD_LU ; 16-byte Folded Reload
	v_mul_f32_e32 v3, v9, v112
	v_dual_mul_f32 v9, v11, v102 :: v_dual_fmac_f32 v90, v8, v112
	v_fmac_f32_e32 v97, v10, v102
	v_fmac_f32_e32 v26, v30, v122
	v_add_f32_e32 v18, v21, v124
	s_delay_alu instid0(VALU_DEP_4)
	v_fma_f32 v102, v10, v103, -v9
	scratch_load_b128 v[9:12], off, off offset:48 th:TH_LOAD_LU ; 16-byte Folded Reload
	v_dual_add_f32 v35, v95, v97 :: v_dual_sub_f32 v34, v97, v90
	v_sub_f32_e32 v38, v96, v91
	s_wait_loadcnt 0x1
	v_mul_f32_e32 v103, v14, v99
	v_mul_f32_e32 v2, v14, v98
	v_fma_f32 v101, v8, v113, -v3
	v_mul_f32_e32 v41, v16, v105
	v_mul_f32_e32 v3, v16, v104
	v_fmac_f32_e32 v103, v13, v98
	v_fma_f32 v98, v13, v99, -v2
	v_add_f32_e32 v36, v91, v101
	v_fmac_f32_e32 v41, v15, v104
	v_fma_f32 v42, v15, v105, -v3
	scratch_load_b128 v[13:16], off, off offset:32 th:TH_LOAD_LU ; 16-byte Folded Reload
	s_wait_loadcnt 0x1
	v_mul_f32_e32 v37, v12, v117
	v_dual_mul_f32 v3, v12, v116 :: v_dual_mul_f32 v2, v10, v114
	s_delay_alu instid0(VALU_DEP_2) | instskip(NEXT) | instid1(VALU_DEP_2)
	v_fmac_f32_e32 v37, v11, v116
	v_fma_f32 v105, v11, v117, -v3
	s_delay_alu instid0(VALU_DEP_3) | instskip(SKIP_3) | instid1(VALU_DEP_2)
	v_fma_f32 v104, v9, v115, -v2
	s_wait_loadcnt 0x0
	v_mul_f32_e32 v99, v14, v109
	v_mul_f32_e32 v8, v14, v108
	v_dual_mul_f32 v2, v16, v106 :: v_dual_fmac_f32 v99, v13, v108
	s_delay_alu instid0(VALU_DEP_2) | instskip(SKIP_3) | instid1(VALU_DEP_2)
	v_fma_f32 v108, v13, v109, -v8
	scratch_load_b128 v[11:14], off, off offset:16 th:TH_LOAD_LU ; 16-byte Folded Reload
	v_mul_f32_e32 v109, v16, v107
	v_mul_f32_e32 v43, v10, v115
	v_fmac_f32_e32 v109, v15, v106
	v_fma_f32 v106, v15, v107, -v2
	s_wait_loadcnt 0x0
	v_mul_f32_e32 v2, v14, v118
	v_dual_mul_f32 v112, v12, v121 :: v_dual_fmac_f32 v43, v9, v114
	s_delay_alu instid0(VALU_DEP_2) | instskip(NEXT) | instid1(VALU_DEP_2)
	v_fma_f32 v27, v13, v119, -v2
	v_fmac_f32_e32 v112, v11, v120
	v_add_f32_e32 v2, v125, v127
	s_delay_alu instid0(VALU_DEP_1) | instskip(SKIP_1) | instid1(VALU_DEP_1)
	v_fma_f32 v2, -0.5, v2, v20
	v_mul_f32_e32 v3, v12, v120
	v_fma_f32 v107, v11, v121, -v3
	scratch_load_b128 v[9:12], off, off th:TH_LOAD_LU ; 16-byte Folded Reload
	global_wb scope:SCOPE_SE
	s_wait_loadcnt 0x0
	s_barrier_signal -1
	s_barrier_wait -1
	global_inv scope:SCOPE_SE
	v_dual_mul_f32 v29, v10, v111 :: v_dual_mul_f32 v28, v12, v93
	v_mul_f32_e32 v8, v12, v92
	v_sub_f32_e32 v12, v94, v127
	v_add_f32_e32 v40, v41, v43
	s_delay_alu instid0(VALU_DEP_4) | instskip(NEXT) | instid1(VALU_DEP_4)
	v_dual_fmac_f32 v29, v9, v110 :: v_dual_fmac_f32 v28, v11, v92
	v_fma_f32 v25, v11, v93, -v8
	v_sub_f32_e32 v11, v88, v89
	v_mul_f32_e32 v3, v10, v110
	v_dual_mul_f32 v110, v33, v78 :: v_dual_mul_f32 v113, v14, v119
	v_add_f32_e32 v8, v20, v79
	v_sub_f32_e32 v10, v79, v125
	s_delay_alu instid0(VALU_DEP_4) | instskip(NEXT) | instid1(VALU_DEP_4)
	v_fma_f32 v24, v9, v111, -v3
	v_dual_fmac_f32 v110, v32, v77 :: v_dual_fmac_f32 v113, v13, v118
	v_sub_f32_e32 v9, v124, v100
	v_mul_f32_e32 v3, v31, v122
	v_dual_add_f32 v15, v10, v12 :: v_dual_mul_f32 v14, v33, v77
	v_sub_f32_e32 v33, v91, v101
	v_add_f32_e32 v31, v126, v90
	s_delay_alu instid0(VALU_DEP_4) | instskip(SKIP_4) | instid1(VALU_DEP_4)
	v_fma_f32 v16, v30, v123, -v3
	v_add_f32_e32 v3, v8, v125
	v_fma_f32 v17, v32, v78, -v14
	v_sub_f32_e32 v30, v100, v89
	v_add_f32_e32 v32, v22, v95
	v_dual_sub_f32 v78, v98, v105 :: v_dual_add_f32 v3, v3, v127
	v_sub_f32_e32 v39, v102, v101
	v_add_f32_e32 v77, v4, v103
	v_dual_add_f32 v93, v106, v107 :: v_dual_add_f32 v92, v99, v113
	s_delay_alu instid0(VALU_DEP_4) | instskip(SKIP_3) | instid1(VALU_DEP_3)
	v_add_f32_e32 v14, v3, v94
	v_fmamk_f32 v8, v9, 0xbf737871, v2
	v_dual_fmac_f32 v2, 0x3f737871, v9 :: v_dual_add_f32 v13, v79, v94
	v_dual_add_f32 v38, v38, v39 :: v_dual_sub_f32 v39, v101, v102
	v_fmac_f32_e32 v8, 0xbf167918, v11
	s_delay_alu instid0(VALU_DEP_3) | instskip(NEXT) | instid1(VALU_DEP_4)
	v_fmac_f32_e32 v2, 0x3f167918, v11
	v_fma_f32 v10, -0.5, v13, v20
	v_dual_sub_f32 v13, v127, v94 :: v_dual_sub_f32 v20, v125, v127
	s_delay_alu instid0(VALU_DEP_2) | instskip(SKIP_2) | instid1(VALU_DEP_3)
	v_fmamk_f32 v12, v11, 0x3f737871, v10
	v_dual_fmac_f32 v10, 0xbf737871, v11 :: v_dual_add_f32 v19, v88, v89
	v_dual_fmac_f32 v2, 0x3e9e377a, v15 :: v_dual_add_f32 v11, v18, v88
	v_fmac_f32_e32 v12, 0xbf167918, v9
	s_delay_alu instid0(VALU_DEP_3) | instskip(NEXT) | instid1(VALU_DEP_3)
	v_dual_fmac_f32 v10, 0x3f167918, v9 :: v_dual_sub_f32 v3, v125, v79
	v_dual_fmac_f32 v8, 0x3e9e377a, v15 :: v_dual_add_f32 v15, v11, v89
	s_delay_alu instid0(VALU_DEP_2) | instskip(SKIP_2) | instid1(VALU_DEP_3)
	v_dual_sub_f32 v18, v124, v88 :: v_dual_add_f32 v13, v3, v13
	v_fma_f32 v3, -0.5, v19, v21
	v_sub_f32_e32 v19, v79, v94
	v_dual_add_f32 v11, v124, v100 :: v_dual_fmac_f32 v10, 0x3e9e377a, v13
	v_fmac_f32_e32 v12, 0x3e9e377a, v13
	s_delay_alu instid0(VALU_DEP_3) | instskip(NEXT) | instid1(VALU_DEP_3)
	v_fmamk_f32 v9, v19, 0x3f737871, v3
	v_fma_f32 v11, -0.5, v11, v21
	v_dual_add_f32 v21, v18, v30 :: v_dual_sub_f32 v30, v89, v100
	v_sub_f32_e32 v18, v88, v124
	v_add_f32_e32 v15, v15, v100
	v_fmac_f32_e32 v9, 0x3f167918, v20
	v_dual_fmamk_f32 v13, v20, 0xbf737871, v11 :: v_dual_add_f32 v88, v103, v37
	s_delay_alu instid0(VALU_DEP_4)
	v_add_f32_e32 v30, v18, v30
	v_fma_f32 v18, -0.5, v31, v22
	v_sub_f32_e32 v31, v96, v102
	v_fmac_f32_e32 v3, 0xbf737871, v19
	v_fmac_f32_e32 v9, 0x3e9e377a, v21
	;; [unrolled: 1-line block ×3, first 2 shown]
	v_fma_f32 v22, -0.5, v35, v22
	s_delay_alu instid0(VALU_DEP_4) | instskip(SKIP_1) | instid1(VALU_DEP_4)
	v_fmac_f32_e32 v3, 0xbf167918, v20
	v_fmamk_f32 v20, v31, 0xbf737871, v18
	v_fmac_f32_e32 v11, 0xbf167918, v19
	s_delay_alu instid0(VALU_DEP_3) | instskip(SKIP_2) | instid1(VALU_DEP_2)
	v_fmac_f32_e32 v3, 0x3e9e377a, v21
	v_add_f32_e32 v21, v32, v126
	v_dual_sub_f32 v32, v95, v126 :: v_dual_fmac_f32 v13, 0x3f167918, v19
	v_dual_fmac_f32 v20, 0xbf167918, v33 :: v_dual_add_f32 v19, v21, v90
	s_delay_alu instid0(VALU_DEP_2) | instskip(NEXT) | instid1(VALU_DEP_3)
	v_dual_add_f32 v21, v32, v34 :: v_dual_fmamk_f32 v32, v33, 0x3f737871, v22
	v_dual_sub_f32 v34, v90, v97 :: v_dual_fmac_f32 v13, 0x3e9e377a, v30
	s_delay_alu instid0(VALU_DEP_2) | instskip(SKIP_1) | instid1(VALU_DEP_4)
	v_fmac_f32_e32 v20, 0x3e9e377a, v21
	v_fmac_f32_e32 v18, 0x3f737871, v31
	;; [unrolled: 1-line block ×3, first 2 shown]
	v_dual_fmac_f32 v22, 0xbf737871, v33 :: v_dual_add_f32 v35, v23, v96
	s_delay_alu instid0(VALU_DEP_3) | instskip(SKIP_1) | instid1(VALU_DEP_3)
	v_fmac_f32_e32 v18, 0x3f167918, v33
	v_dual_fmac_f32 v11, 0x3e9e377a, v30 :: v_dual_add_f32 v30, v19, v97
	v_fmac_f32_e32 v22, 0x3f167918, v31
	v_sub_f32_e32 v19, v126, v95
	v_add_f32_e32 v33, v35, v91
	v_sub_f32_e32 v35, v95, v97
	v_dual_fmac_f32 v18, 0x3e9e377a, v21 :: v_dual_sub_f32 v97, v110, v26
	s_delay_alu instid0(VALU_DEP_4)
	v_add_f32_e32 v34, v19, v34
	v_fma_f32 v19, -0.5, v36, v23
	v_add_f32_e32 v31, v33, v101
	v_add_f32_e32 v33, v96, v102
	v_sub_f32_e32 v36, v126, v90
	v_fmac_f32_e32 v32, 0x3e9e377a, v34
	v_fmamk_f32 v21, v35, 0x3f737871, v19
	v_fmac_f32_e32 v22, 0x3e9e377a, v34
	v_dual_fmac_f32 v19, 0xbf737871, v35 :: v_dual_sub_f32 v34, v91, v96
	v_add_f32_e32 v31, v31, v102
	s_delay_alu instid0(VALU_DEP_4) | instskip(NEXT) | instid1(VALU_DEP_3)
	v_dual_fmac_f32 v21, 0x3f167918, v36 :: v_dual_sub_f32 v90, v99, v109
	v_fmac_f32_e32 v19, 0xbf167918, v36
	s_delay_alu instid0(VALU_DEP_4)
	v_add_f32_e32 v39, v34, v39
	v_fma_f32 v34, -0.5, v40, v4
	v_fmac_f32_e32 v23, -0.5, v33
	v_sub_f32_e32 v40, v103, v41
	v_fma_f32 v4, -0.5, v88, v4
	v_sub_f32_e32 v79, v37, v43
	s_delay_alu instid0(VALU_DEP_4) | instskip(SKIP_2) | instid1(VALU_DEP_4)
	v_dual_add_f32 v88, v5, v98 :: v_dual_fmamk_f32 v33, v36, 0xbf737871, v23
	v_fmac_f32_e32 v19, 0x3e9e377a, v38
	v_fmac_f32_e32 v23, 0x3f737871, v36
	v_dual_fmamk_f32 v36, v78, 0xbf737871, v34 :: v_dual_add_f32 v79, v40, v79
	v_dual_fmac_f32 v21, 0x3e9e377a, v38 :: v_dual_add_f32 v38, v77, v41
	v_dual_sub_f32 v77, v42, v104 :: v_dual_fmac_f32 v34, 0x3f737871, v78
	v_fmac_f32_e32 v33, 0x3f167918, v35
	v_fmac_f32_e32 v23, 0xbf167918, v35
	v_sub_f32_e32 v91, v113, v112
	v_sub_f32_e32 v96, v29, v28
	v_dual_fmac_f32 v34, 0x3f167918, v77 :: v_dual_sub_f32 v95, v27, v107
	s_delay_alu instid0(VALU_DEP_2) | instskip(NEXT) | instid1(VALU_DEP_2)
	v_dual_add_f32 v91, v90, v91 :: v_dual_add_f32 v96, v96, v97
	v_fmac_f32_e32 v34, 0x3e9e377a, v79
	v_fmamk_f32 v40, v77, 0x3f737871, v4
	v_dual_fmac_f32 v4, 0xbf737871, v77 :: v_dual_add_f32 v35, v38, v43
	v_fmac_f32_e32 v33, 0x3e9e377a, v39
	v_fmac_f32_e32 v23, 0x3e9e377a, v39
	s_delay_alu instid0(VALU_DEP_3) | instskip(NEXT) | instid1(VALU_DEP_4)
	v_dual_sub_f32 v39, v43, v37 :: v_dual_fmac_f32 v4, 0x3f167918, v78
	v_dual_add_f32 v38, v35, v37 :: v_dual_sub_f32 v35, v41, v103
	v_fmac_f32_e32 v40, 0xbf167918, v78
	v_add_f32_e32 v78, v98, v105
	v_dual_fmac_f32 v36, 0xbf167918, v77 :: v_dual_sub_f32 v43, v41, v43
	s_delay_alu instid0(VALU_DEP_4)
	v_add_f32_e32 v39, v35, v39
	v_add_f32_e32 v89, v42, v104
	;; [unrolled: 1-line block ×3, first 2 shown]
	v_sub_f32_e32 v41, v98, v42
	v_sub_f32_e32 v42, v42, v98
	v_fmac_f32_e32 v40, 0x3e9e377a, v39
	v_fma_f32 v35, -0.5, v89, v5
	v_fma_f32 v5, -0.5, v78, v5
	v_sub_f32_e32 v78, v104, v105
	v_dual_fmac_f32 v4, 0x3e9e377a, v39 :: v_dual_add_f32 v77, v77, v104
	v_dual_sub_f32 v88, v103, v37 :: v_dual_add_f32 v89, v6, v99
	s_delay_alu instid0(VALU_DEP_3) | instskip(SKIP_1) | instid1(VALU_DEP_4)
	v_add_f32_e32 v78, v42, v78
	v_dual_fmac_f32 v36, 0x3e9e377a, v79 :: v_dual_sub_f32 v79, v105, v104
	v_add_f32_e32 v39, v77, v105
	s_delay_alu instid0(VALU_DEP_4) | instskip(SKIP_1) | instid1(VALU_DEP_4)
	v_fmamk_f32 v37, v88, 0x3f737871, v35
	v_dual_fmac_f32 v35, 0xbf737871, v88 :: v_dual_add_f32 v98, v29, v110
	v_add_f32_e32 v77, v41, v79
	v_fmamk_f32 v41, v43, 0xbf737871, v5
	v_add_f32_e32 v79, v109, v112
	v_fmac_f32_e32 v5, 0x3f737871, v43
	ds_store_2addr_b64 v178, v[14:15], v[8:9] offset1:17
	ds_store_2addr_b64 v178, v[12:13], v[10:11] offset0:34 offset1:51
	ds_store_2addr_b64 v178, v[2:3], v[30:31] offset0:68 offset1:85
	;; [unrolled: 1-line block ×4, first 2 shown]
	v_dual_sub_f32 v97, v28, v29 :: v_dual_add_nc_u32 v8, 0x800, v182
	v_fma_f32 v42, -0.5, v79, v6
	v_sub_f32_e32 v79, v108, v27
	v_fmac_f32_e32 v41, 0x3f167918, v88
	v_fmac_f32_e32 v5, 0xbf167918, v88
	v_fma_f32 v6, -0.5, v92, v6
	v_add_f32_e32 v92, v7, v108
	v_add_nc_u32_e32 v2, 0x400, v185
	v_fmac_f32_e32 v41, 0x3e9e377a, v78
	v_dual_fmac_f32 v5, 0x3e9e377a, v78 :: v_dual_sub_f32 v78, v112, v113
	v_fmac_f32_e32 v37, 0x3f167918, v43
	v_fmac_f32_e32 v35, 0xbf167918, v43
	v_add_f32_e32 v43, v89, v109
	v_sub_f32_e32 v89, v106, v107
	v_add_nc_u32_e32 v3, 0x800, v185
	s_delay_alu instid0(VALU_DEP_2) | instskip(SKIP_1) | instid1(VALU_DEP_2)
	v_dual_add_f32 v43, v43, v112 :: v_dual_fmamk_f32 v90, v89, 0x3f737871, v6
	v_fmac_f32_e32 v6, 0xbf737871, v89
	v_dual_add_f32 v88, v43, v113 :: v_dual_sub_f32 v43, v109, v99
	s_delay_alu instid0(VALU_DEP_2) | instskip(NEXT) | instid1(VALU_DEP_2)
	v_fmac_f32_e32 v6, 0x3f167918, v79
	v_add_f32_e32 v94, v43, v78
	v_dual_add_f32 v78, v92, v106 :: v_dual_fmac_f32 v37, 0x3e9e377a, v77
	v_fma_f32 v43, -0.5, v93, v7
	s_delay_alu instid0(VALU_DEP_3) | instskip(SKIP_2) | instid1(VALU_DEP_2)
	v_dual_sub_f32 v93, v99, v113 :: v_dual_fmac_f32 v6, 0x3e9e377a, v94
	v_fmac_f32_e32 v90, 0xbf167918, v79
	v_sub_f32_e32 v92, v109, v112
	v_dual_add_f32 v99, v1, v24 :: v_dual_fmac_f32 v90, 0x3e9e377a, v94
	v_dual_sub_f32 v94, v106, v108 :: v_dual_fmac_f32 v35, 0x3e9e377a, v77
	v_fmamk_f32 v77, v79, 0xbf737871, v42
	v_fmac_f32_e32 v42, 0x3f737871, v79
	v_dual_add_f32 v79, v78, v107 :: v_dual_fmamk_f32 v78, v93, 0x3f737871, v43
	v_fmac_f32_e32 v43, 0xbf737871, v93
	s_delay_alu instid0(VALU_DEP_4) | instskip(NEXT) | instid1(VALU_DEP_4)
	v_fmac_f32_e32 v77, 0xbf167918, v89
	v_dual_fmac_f32 v42, 0x3f167918, v89 :: v_dual_add_f32 v89, v108, v27
	s_delay_alu instid0(VALU_DEP_4) | instskip(NEXT) | instid1(VALU_DEP_4)
	v_fmac_f32_e32 v78, 0x3f167918, v92
	v_fmac_f32_e32 v43, 0xbf167918, v92
	s_delay_alu instid0(VALU_DEP_4) | instskip(NEXT) | instid1(VALU_DEP_4)
	v_fmac_f32_e32 v77, 0x3e9e377a, v91
	v_dual_fmac_f32 v42, 0x3e9e377a, v91 :: v_dual_sub_f32 v91, v108, v106
	v_fmac_f32_e32 v7, -0.5, v89
	v_add_f32_e32 v89, v79, v27
	v_sub_f32_e32 v27, v107, v27
	s_delay_alu instid0(VALU_DEP_4) | instskip(SKIP_2) | instid1(VALU_DEP_4)
	v_add_f32_e32 v79, v91, v95
	v_add_f32_e32 v95, v28, v26
	v_fmamk_f32 v91, v92, 0xbf737871, v7
	v_dual_add_f32 v27, v94, v27 :: v_dual_add_f32 v94, v0, v29
	s_delay_alu instid0(VALU_DEP_4)
	v_fmac_f32_e32 v78, 0x3e9e377a, v79
	v_fmac_f32_e32 v7, 0x3f737871, v92
	v_fma_f32 v92, -0.5, v95, v0
	v_sub_f32_e32 v95, v24, v17
	v_fmac_f32_e32 v43, 0x3e9e377a, v79
	v_add_f32_e32 v79, v94, v28
	v_fmac_f32_e32 v91, 0x3f167918, v93
	v_fmac_f32_e32 v7, 0xbf167918, v93
	v_dual_fmamk_f32 v94, v95, 0xbf737871, v92 :: v_dual_sub_f32 v93, v25, v16
	s_delay_alu instid0(VALU_DEP_4) | instskip(NEXT) | instid1(VALU_DEP_4)
	v_dual_fmac_f32 v92, 0x3f737871, v95 :: v_dual_add_f32 v79, v79, v26
	v_fmac_f32_e32 v91, 0x3e9e377a, v27
	v_fma_f32 v0, -0.5, v98, v0
	s_delay_alu instid0(VALU_DEP_4) | instskip(NEXT) | instid1(VALU_DEP_4)
	v_fmac_f32_e32 v94, 0xbf167918, v93
	v_fmac_f32_e32 v92, 0x3f167918, v93
	;; [unrolled: 1-line block ×3, first 2 shown]
	v_add_f32_e32 v27, v79, v110
	v_dual_add_f32 v79, v25, v16 :: v_dual_sub_f32 v98, v26, v110
	v_fmac_f32_e32 v94, 0x3e9e377a, v96
	v_fmac_f32_e32 v92, 0x3e9e377a, v96
	v_fmamk_f32 v96, v93, 0x3f737871, v0
	v_fmac_f32_e32 v0, 0xbf737871, v93
	v_fma_f32 v93, -0.5, v79, v1
	v_dual_add_f32 v79, v97, v98 :: v_dual_add_f32 v98, v24, v17
	s_delay_alu instid0(VALU_DEP_4) | instskip(NEXT) | instid1(VALU_DEP_4)
	v_dual_sub_f32 v29, v29, v110 :: v_dual_fmac_f32 v96, 0xbf167918, v95
	v_dual_fmac_f32 v0, 0x3f167918, v95 :: v_dual_add_f32 v97, v99, v25
	v_sub_f32_e32 v26, v28, v26
	s_delay_alu instid0(VALU_DEP_4) | instskip(NEXT) | instid1(VALU_DEP_4)
	v_fmac_f32_e32 v1, -0.5, v98
	v_fmamk_f32 v95, v29, 0x3f737871, v93
	v_fmac_f32_e32 v96, 0x3e9e377a, v79
	v_fmac_f32_e32 v0, 0x3e9e377a, v79
	v_dual_add_f32 v28, v97, v16 :: v_dual_sub_f32 v79, v24, v25
	v_dual_sub_f32 v98, v17, v16 :: v_dual_fmamk_f32 v97, v26, 0xbf737871, v1
	v_sub_f32_e32 v24, v25, v24
	v_dual_sub_f32 v16, v16, v17 :: v_dual_fmac_f32 v1, 0x3f737871, v26
	v_fmac_f32_e32 v93, 0xbf737871, v29
	v_fmac_f32_e32 v95, 0x3f167918, v26
	s_delay_alu instid0(VALU_DEP_3) | instskip(NEXT) | instid1(VALU_DEP_4)
	v_dual_add_f32 v25, v79, v98 :: v_dual_add_f32 v16, v24, v16
	v_fmac_f32_e32 v1, 0xbf167918, v29
	s_delay_alu instid0(VALU_DEP_4)
	v_fmac_f32_e32 v93, 0xbf167918, v26
	v_fmac_f32_e32 v97, 0x3f167918, v29
	v_add_f32_e32 v28, v28, v17
	v_fmac_f32_e32 v95, 0x3e9e377a, v25
	v_fmac_f32_e32 v1, 0x3e9e377a, v16
	;; [unrolled: 1-line block ×4, first 2 shown]
	ds_store_2addr_b64 v186, v[38:39], v[36:37] offset0:170 offset1:187
	ds_store_2addr_b64 v186, v[40:41], v[4:5] offset0:204 offset1:221
	;; [unrolled: 1-line block ×6, first 2 shown]
	ds_store_b64 v186, v[34:35] offset:1904
	ds_store_b64 v185, v[42:43] offset:2584
	;; [unrolled: 1-line block ×3, first 2 shown]
	global_wb scope:SCOPE_SE
	s_wait_dscnt 0x0
	s_barrier_signal -1
	s_barrier_wait -1
	global_inv scope:SCOPE_SE
	ds_load_2addr_b64 v[0:3], v178 offset0:68 offset1:85
	ds_load_2addr_b64 v[12:15], v178 offset0:170 offset1:187
	;; [unrolled: 1-line block ×3, first 2 shown]
	ds_load_2addr_b64 v[8:11], v178 offset1:17
	ds_load_2addr_b64 v[20:23], v76 offset0:84 offset1:101
	ds_load_2addr_b64 v[24:27], v178 offset0:102 offset1:119
	;; [unrolled: 1-line block ×8, first 2 shown]
	ds_load_b64 v[77:78], v178 offset:3264
	s_wait_dscnt 0xc
	v_mul_f32_e32 v79, v69, v3
	s_wait_dscnt 0xa
	v_mul_f32_e32 v92, v81, v19
	v_mul_f32_e32 v81, v81, v18
	s_delay_alu instid0(VALU_DEP_3) | instskip(SKIP_1) | instid1(VALU_DEP_4)
	v_fmac_f32_e32 v79, v68, v2
	v_dual_mul_f32 v2, v69, v2 :: v_dual_mul_f32 v69, v71, v13
	v_dual_mul_f32 v71, v71, v12 :: v_dual_fmac_f32 v92, v80, v18
	s_delay_alu instid0(VALU_DEP_2) | instskip(NEXT) | instid1(VALU_DEP_3)
	v_fma_f32 v68, v68, v3, -v2
	v_fmac_f32_e32 v69, v70, v12
	s_delay_alu instid0(VALU_DEP_3)
	v_fma_f32 v70, v70, v13, -v71
	v_fma_f32 v71, v80, v19, -v81
	s_wait_dscnt 0x8
	v_mul_f32_e32 v2, v83, v20
	s_wait_dscnt 0x7
	v_mul_f32_e32 v80, v53, v25
	v_mul_f32_e32 v3, v53, v24
	;; [unrolled: 1-line block ×4, first 2 shown]
	v_fma_f32 v81, v82, v21, -v2
	v_fmac_f32_e32 v80, v52, v24
	v_fma_f32 v52, v52, v25, -v3
	v_fmac_f32_e32 v53, v54, v14
	s_wait_dscnt 0x6
	v_dual_mul_f32 v2, v55, v14 :: v_dual_mul_f32 v3, v85, v28
	s_delay_alu instid0(VALU_DEP_1) | instskip(SKIP_2) | instid1(VALU_DEP_4)
	v_fma_f32 v54, v54, v15, -v2
	v_dual_mul_f32 v2, v65, v26 :: v_dual_sub_f32 v15, v68, v81
	v_mul_f32_e32 v13, v83, v21
	v_fma_f32 v83, v84, v29, -v3
	v_mul_f32_e32 v55, v85, v29
	v_mul_f32_e32 v85, v65, v27
	s_wait_dscnt 0x4
	v_mul_f32_e32 v65, v67, v33
	v_mul_f32_e32 v3, v67, v32
	;; [unrolled: 1-line block ×3, first 2 shown]
	s_wait_dscnt 0x2
	v_mul_f32_e32 v21, v57, v43
	v_fmac_f32_e32 v85, v64, v26
	v_fma_f32 v64, v64, v27, -v2
	v_fmac_f32_e32 v65, v66, v32
	v_fma_f32 v66, v66, v33, -v3
	v_dual_mul_f32 v2, v73, v30 :: v_dual_mul_f32 v73, v75, v37
	v_mul_f32_e32 v3, v75, v36
	v_dual_mul_f32 v75, v49, v41 :: v_dual_sub_f32 v32, v54, v83
	v_fmac_f32_e32 v55, v84, v28
	v_fma_f32 v84, v86, v23, -v12
	v_dual_mul_f32 v12, v49, v40 :: v_dual_fmac_f32 v67, v72, v30
	v_fma_f32 v49, v72, v31, -v2
	v_dual_fmac_f32 v73, v74, v36 :: v_dual_sub_f32 v36, v52, v54
	v_fma_f32 v72, v74, v37, -v3
	v_fmac_f32_e32 v75, v48, v40
	v_fma_f32 v74, v48, v41, -v12
	v_mul_f32_e32 v48, v51, v35
	s_wait_dscnt 0x1
	v_dual_mul_f32 v2, v51, v34 :: v_dual_mul_f32 v51, v61, v89
	v_mul_f32_e32 v3, v61, v88
	v_mul_f32_e32 v12, v59, v16
	v_fmac_f32_e32 v48, v50, v34
	s_delay_alu instid0(VALU_DEP_4) | instskip(SKIP_4) | instid1(VALU_DEP_4)
	v_fma_f32 v50, v50, v35, -v2
	v_dual_mul_f32 v2, v63, v38 :: v_dual_fmac_f32 v51, v60, v88
	v_fma_f32 v60, v60, v89, -v3
	v_mul_f32_e32 v3, v57, v42
	v_dual_fmac_f32 v13, v82, v20 :: v_dual_add_f32 v30, v53, v55
	v_fma_f32 v57, v62, v39, -v2
	v_add_f32_e32 v2, v69, v92
	v_mul_f32_e32 v82, v87, v23
	v_fma_f32 v18, v56, v43, -v3
	v_fma_f32 v19, v58, v17, -v12
	v_dual_mul_f32 v3, v45, v90 :: v_dual_add_f32 v12, v8, v79
	v_fma_f32 v2, -0.5, v2, v8
	v_fmac_f32_e32 v82, v86, v22
	v_mul_f32_e32 v20, v59, v17
	s_delay_alu instid0(VALU_DEP_4) | instskip(NEXT) | instid1(VALU_DEP_4)
	v_fma_f32 v22, v44, v91, -v3
	v_dual_add_f32 v3, v12, v69 :: v_dual_fmamk_f32 v12, v15, 0xbf737871, v2
	v_fmac_f32_e32 v2, 0x3f737871, v15
	v_add_f32_e32 v24, v79, v13
	v_fmac_f32_e32 v20, v58, v16
	v_dual_sub_f32 v17, v70, v71 :: v_dual_sub_f32 v14, v79, v69
	s_wait_dscnt 0x0
	v_dual_sub_f32 v16, v13, v92 :: v_dual_mul_f32 v25, v47, v77
	v_dual_add_f32 v3, v3, v92 :: v_dual_sub_f32 v40, v66, v49
	v_fma_f32 v8, -0.5, v24, v8
	v_dual_add_f32 v27, v9, v68 :: v_dual_fmac_f32 v12, 0xbf167918, v17
	s_delay_alu instid0(VALU_DEP_4)
	v_add_f32_e32 v26, v14, v16
	v_fma_f32 v24, v46, v78, -v25
	v_add_f32_e32 v16, v3, v13
	v_dual_fmamk_f32 v14, v17, 0x3f737871, v8 :: v_dual_sub_f32 v25, v92, v13
	v_fmac_f32_e32 v2, 0x3f167918, v17
	v_add_f32_e32 v28, v70, v71
	v_dual_fmac_f32 v8, 0xbf737871, v17 :: v_dual_sub_f32 v3, v69, v79
	s_delay_alu instid0(VALU_DEP_4) | instskip(NEXT) | instid1(VALU_DEP_2)
	v_dual_add_f32 v17, v27, v70 :: v_dual_fmac_f32 v14, 0xbf167918, v15
	v_dual_sub_f32 v27, v68, v70 :: v_dual_fmac_f32 v8, 0x3f167918, v15
	s_delay_alu instid0(VALU_DEP_3) | instskip(SKIP_1) | instid1(VALU_DEP_4)
	v_add_f32_e32 v25, v3, v25
	v_fma_f32 v3, -0.5, v28, v9
	v_dual_sub_f32 v28, v79, v13 :: v_dual_add_f32 v15, v17, v71
	v_add_f32_e32 v17, v68, v81
	v_dual_sub_f32 v29, v81, v71 :: v_dual_fmac_f32 v12, 0x3e9e377a, v26
	v_fmac_f32_e32 v2, 0x3e9e377a, v26
	v_fmac_f32_e32 v14, 0x3e9e377a, v25
	v_dual_fmamk_f32 v13, v28, 0x3f737871, v3 :: v_dual_sub_f32 v26, v69, v92
	v_fmac_f32_e32 v8, 0x3e9e377a, v25
	v_fma_f32 v9, -0.5, v17, v9
	v_add_f32_e32 v27, v27, v29
	v_fmac_f32_e32 v3, 0xbf737871, v28
	v_sub_f32_e32 v25, v70, v68
	v_sub_f32_e32 v29, v71, v81
	v_add_f32_e32 v31, v10, v80
	v_add_f32_e32 v17, v15, v81
	v_fmac_f32_e32 v13, 0x3f167918, v26
	v_fmamk_f32 v15, v26, 0xbf737871, v9
	v_fmac_f32_e32 v3, 0xbf167918, v26
	v_add_f32_e32 v29, v25, v29
	v_fma_f32 v25, -0.5, v30, v10
	v_dual_sub_f32 v30, v52, v84 :: v_dual_fmac_f32 v9, 0x3f737871, v26
	v_add_f32_e32 v26, v31, v53
	v_sub_f32_e32 v31, v80, v53
	v_dual_sub_f32 v33, v82, v55 :: v_dual_add_f32 v34, v80, v82
	v_fmac_f32_e32 v15, 0x3f167918, v28
	v_fmac_f32_e32 v9, 0xbf167918, v28
	s_delay_alu instid0(VALU_DEP_3)
	v_dual_fmac_f32 v13, 0x3e9e377a, v27 :: v_dual_add_f32 v28, v31, v33
	v_add_f32_e32 v26, v26, v55
	v_fma_f32 v10, -0.5, v34, v10
	v_fmac_f32_e32 v15, 0x3e9e377a, v29
	v_fmac_f32_e32 v9, 0x3e9e377a, v29
	v_sub_f32_e32 v33, v55, v82
	v_add_f32_e32 v29, v26, v82
	v_dual_fmamk_f32 v31, v32, 0x3f737871, v10 :: v_dual_sub_f32 v26, v53, v80
	v_fmac_f32_e32 v10, 0xbf737871, v32
	v_fmac_f32_e32 v3, 0x3e9e377a, v27
	v_fmamk_f32 v27, v30, 0xbf737871, v25
	v_dual_fmac_f32 v25, 0x3f737871, v30 :: v_dual_add_f32 v34, v11, v52
	v_add_f32_e32 v35, v54, v83
	v_dual_add_f32 v33, v26, v33 :: v_dual_fmac_f32 v10, 0x3f167918, v30
	s_delay_alu instid0(VALU_DEP_3) | instskip(SKIP_1) | instid1(VALU_DEP_4)
	v_fmac_f32_e32 v25, 0x3f167918, v32
	v_fmac_f32_e32 v31, 0xbf167918, v30
	v_fma_f32 v26, -0.5, v35, v11
	s_delay_alu instid0(VALU_DEP_4) | instskip(SKIP_3) | instid1(VALU_DEP_3)
	v_dual_sub_f32 v35, v53, v55 :: v_dual_fmac_f32 v10, 0x3e9e377a, v33
	v_dual_fmac_f32 v27, 0xbf167918, v32 :: v_dual_add_f32 v32, v34, v54
	v_dual_sub_f32 v34, v80, v82 :: v_dual_fmac_f32 v25, 0x3e9e377a, v28
	v_sub_f32_e32 v37, v84, v83
	v_dual_fmac_f32 v27, 0x3e9e377a, v28 :: v_dual_add_f32 v30, v32, v83
	s_delay_alu instid0(VALU_DEP_3) | instskip(SKIP_2) | instid1(VALU_DEP_4)
	v_dual_mul_f32 v61, v63, v39 :: v_dual_fmamk_f32 v28, v34, 0x3f737871, v26
	v_add_f32_e32 v32, v52, v84
	v_fmac_f32_e32 v26, 0xbf737871, v34
	v_add_f32_e32 v30, v30, v84
	s_delay_alu instid0(VALU_DEP_4) | instskip(NEXT) | instid1(VALU_DEP_4)
	v_dual_fmac_f32 v61, v62, v38 :: v_dual_add_f32 v36, v36, v37
	v_dual_fmac_f32 v11, -0.5, v32 :: v_dual_fmac_f32 v28, 0x3f167918, v35
	s_delay_alu instid0(VALU_DEP_4) | instskip(SKIP_1) | instid1(VALU_DEP_3)
	v_dual_fmac_f32 v26, 0xbf167918, v35 :: v_dual_add_f32 v39, v4, v85
	v_fmac_f32_e32 v31, 0x3e9e377a, v33
	v_fmamk_f32 v32, v35, 0xbf737871, v11
	v_dual_fmac_f32 v21, v56, v42 :: v_dual_add_f32 v38, v65, v67
	v_sub_f32_e32 v33, v54, v52
	v_sub_f32_e32 v37, v83, v84
	v_fmac_f32_e32 v28, 0x3e9e377a, v36
	v_fmac_f32_e32 v26, 0x3e9e377a, v36
	v_dual_fmac_f32 v11, 0x3f737871, v35 :: v_dual_add_f32 v36, v39, v65
	v_dual_mul_f32 v23, v45, v91 :: v_dual_fmac_f32 v32, 0x3f167918, v34
	v_dual_mul_f32 v56, v47, v78 :: v_dual_add_f32 v37, v33, v37
	v_fma_f32 v33, -0.5, v38, v4
	v_dual_sub_f32 v38, v64, v72 :: v_dual_sub_f32 v39, v85, v65
	v_sub_f32_e32 v41, v73, v67
	v_dual_add_f32 v42, v85, v73 :: v_dual_fmac_f32 v11, 0xbf167918, v34
	v_add_f32_e32 v34, v36, v67
	v_dual_fmac_f32 v23, v44, v90 :: v_dual_fmac_f32 v32, 0x3e9e377a, v37
	v_fmac_f32_e32 v56, v46, v77
	v_dual_fmamk_f32 v35, v38, 0xbf737871, v33 :: v_dual_add_f32 v36, v39, v41
	v_fma_f32 v4, -0.5, v42, v4
	v_fmac_f32_e32 v11, 0x3e9e377a, v37
	s_delay_alu instid0(VALU_DEP_4)
	v_dual_add_f32 v37, v34, v73 :: v_dual_add_f32 v58, v21, v56
	v_dual_fmac_f32 v33, 0x3f737871, v38 :: v_dual_sub_f32 v34, v65, v85
	v_dual_sub_f32 v41, v67, v73 :: v_dual_add_f32 v42, v5, v64
	v_add_f32_e32 v43, v66, v49
	v_fmac_f32_e32 v35, 0xbf167918, v40
	v_fmamk_f32 v39, v40, 0x3f737871, v4
	v_fmac_f32_e32 v33, 0x3f167918, v40
	v_dual_add_f32 v41, v34, v41 :: v_dual_fmac_f32 v4, 0xbf737871, v40
	v_add_f32_e32 v40, v42, v66
	v_fma_f32 v34, -0.5, v43, v5
	v_dual_sub_f32 v42, v85, v73 :: v_dual_fmac_f32 v35, 0x3e9e377a, v36
	v_fmac_f32_e32 v39, 0xbf167918, v38
	v_fmac_f32_e32 v33, 0x3e9e377a, v36
	;; [unrolled: 1-line block ×3, first 2 shown]
	v_add_f32_e32 v38, v40, v49
	v_fmamk_f32 v36, v42, 0x3f737871, v34
	v_dual_add_f32 v40, v64, v72 :: v_dual_sub_f32 v43, v65, v67
	v_sub_f32_e32 v44, v64, v66
	v_dual_sub_f32 v45, v72, v49 :: v_dual_fmac_f32 v34, 0xbf737871, v42
	v_fmac_f32_e32 v39, 0x3e9e377a, v41
	v_fmac_f32_e32 v4, 0x3e9e377a, v41
	v_fma_f32 v5, -0.5, v40, v5
	v_fmac_f32_e32 v36, 0x3f167918, v43
	v_dual_add_f32 v44, v44, v45 :: v_dual_sub_f32 v41, v66, v64
	v_dual_sub_f32 v45, v49, v72 :: v_dual_add_f32 v46, v48, v51
	v_fmac_f32_e32 v34, 0xbf167918, v43
	v_dual_add_f32 v47, v6, v75 :: v_dual_fmamk_f32 v40, v43, 0xbf737871, v5
	s_delay_alu instid0(VALU_DEP_3) | instskip(NEXT) | instid1(VALU_DEP_4)
	v_dual_fmac_f32 v36, 0x3e9e377a, v44 :: v_dual_add_f32 v45, v41, v45
	v_fma_f32 v41, -0.5, v46, v6
	v_sub_f32_e32 v46, v74, v57
	v_fmac_f32_e32 v34, 0x3e9e377a, v44
	v_dual_fmac_f32 v5, 0x3f737871, v43 :: v_dual_add_f32 v44, v47, v48
	v_dual_add_f32 v53, v75, v61 :: v_dual_fmac_f32 v40, 0x3f167918, v42
	s_delay_alu instid0(VALU_DEP_4)
	v_fmamk_f32 v43, v46, 0xbf737871, v41
	v_sub_f32_e32 v49, v50, v60
	v_dual_sub_f32 v47, v75, v48 :: v_dual_sub_f32 v52, v61, v51
	v_dual_fmac_f32 v5, 0xbf167918, v42 :: v_dual_add_f32 v42, v44, v51
	v_fma_f32 v6, -0.5, v53, v6
	v_fmac_f32_e32 v41, 0x3f737871, v46
	v_dual_add_f32 v53, v7, v74 :: v_dual_fmac_f32 v40, 0x3e9e377a, v45
	v_dual_fmac_f32 v43, 0xbf167918, v49 :: v_dual_add_f32 v44, v47, v52
	v_fmac_f32_e32 v5, 0x3e9e377a, v45
	v_add_f32_e32 v45, v42, v61
	v_dual_fmamk_f32 v47, v49, 0x3f737871, v6 :: v_dual_sub_f32 v42, v48, v75
	v_sub_f32_e32 v52, v51, v61
	v_dual_fmac_f32 v41, 0x3f167918, v49 :: v_dual_add_f32 v54, v50, v60
	v_dual_fmac_f32 v6, 0xbf737871, v49 :: v_dual_add_f32 v49, v53, v50
	s_delay_alu instid0(VALU_DEP_3) | instskip(NEXT) | instid1(VALU_DEP_3)
	v_dual_fmac_f32 v47, 0xbf167918, v46 :: v_dual_add_f32 v52, v42, v52
	v_fma_f32 v42, -0.5, v54, v7
	s_delay_alu instid0(VALU_DEP_3)
	v_dual_sub_f32 v53, v75, v61 :: v_dual_fmac_f32 v6, 0x3f167918, v46
	v_dual_sub_f32 v51, v48, v51 :: v_dual_sub_f32 v48, v74, v50
	v_sub_f32_e32 v54, v57, v60
	ds_store_b64 v178, v[16:17]
	v_add_nc_u32_e32 v16, 0x800, v181
	v_dual_add_f32 v46, v49, v60 :: v_dual_add_f32 v49, v74, v57
	v_fmac_f32_e32 v43, 0x3e9e377a, v44
	v_fmac_f32_e32 v41, 0x3e9e377a, v44
	;; [unrolled: 1-line block ×3, first 2 shown]
	v_fmamk_f32 v44, v53, 0x3f737871, v42
	v_dual_fmac_f32 v6, 0x3e9e377a, v52 :: v_dual_fmac_f32 v7, -0.5, v49
	v_add_f32_e32 v52, v48, v54
	v_dual_fmac_f32 v42, 0xbf737871, v53 :: v_dual_sub_f32 v49, v50, v74
	v_sub_f32_e32 v50, v60, v57
	v_add_f32_e32 v54, v20, v23
	v_fmac_f32_e32 v44, 0x3f167918, v51
	v_fmamk_f32 v48, v51, 0xbf737871, v7
	v_fmac_f32_e32 v42, 0xbf167918, v51
	v_dual_add_f32 v50, v49, v50 :: v_dual_fmac_f32 v7, 0x3f737871, v51
	v_add_f32_e32 v51, v0, v21
	v_fma_f32 v49, -0.5, v54, v0
	v_sub_f32_e32 v54, v18, v24
	v_add_f32_e32 v46, v46, v57
	v_fmac_f32_e32 v44, 0x3e9e377a, v52
	v_fmac_f32_e32 v48, 0x3f167918, v53
	;; [unrolled: 1-line block ×3, first 2 shown]
	v_dual_fmac_f32 v7, 0xbf167918, v53 :: v_dual_add_f32 v52, v51, v20
	v_fmamk_f32 v51, v54, 0xbf737871, v49
	v_sub_f32_e32 v57, v19, v22
	v_sub_f32_e32 v53, v21, v20
	;; [unrolled: 1-line block ×3, first 2 shown]
	v_fmac_f32_e32 v49, 0x3f737871, v54
	v_fma_f32 v0, -0.5, v58, v0
	v_dual_fmac_f32 v51, 0xbf167918, v57 :: v_dual_add_f32 v52, v52, v23
	s_delay_alu instid0(VALU_DEP_4) | instskip(NEXT) | instid1(VALU_DEP_4)
	v_add_f32_e32 v55, v53, v55
	v_fmac_f32_e32 v49, 0x3f167918, v57
	v_fmac_f32_e32 v48, 0x3e9e377a, v50
	;; [unrolled: 1-line block ×3, first 2 shown]
	v_add_f32_e32 v53, v52, v56
	v_fmac_f32_e32 v51, 0x3e9e377a, v55
	v_fmac_f32_e32 v49, 0x3e9e377a, v55
	v_fmamk_f32 v55, v57, 0x3f737871, v0
	v_dual_fmac_f32 v0, 0xbf737871, v57 :: v_dual_add_f32 v57, v1, v18
	v_add_f32_e32 v50, v19, v22
	v_sub_f32_e32 v52, v20, v21
	s_delay_alu instid0(VALU_DEP_4) | instskip(NEXT) | instid1(VALU_DEP_4)
	v_dual_sub_f32 v58, v23, v56 :: v_dual_fmac_f32 v55, 0xbf167918, v54
	v_fmac_f32_e32 v0, 0x3f167918, v54
	v_dual_add_f32 v54, v57, v19 :: v_dual_add_f32 v57, v18, v24
	v_fma_f32 v50, -0.5, v50, v1
	s_delay_alu instid0(VALU_DEP_4) | instskip(NEXT) | instid1(VALU_DEP_3)
	v_dual_sub_f32 v21, v21, v56 :: v_dual_add_f32 v56, v52, v58
	v_dual_sub_f32 v20, v20, v23 :: v_dual_fmac_f32 v1, -0.5, v57
	s_delay_alu instid0(VALU_DEP_4) | instskip(NEXT) | instid1(VALU_DEP_3)
	v_add_f32_e32 v23, v54, v22
	v_dual_sub_f32 v54, v18, v19 :: v_dual_fmac_f32 v55, 0x3e9e377a, v56
	v_fmac_f32_e32 v0, 0x3e9e377a, v56
	s_delay_alu instid0(VALU_DEP_4) | instskip(SKIP_2) | instid1(VALU_DEP_3)
	v_fmamk_f32 v56, v20, 0xbf737871, v1
	v_dual_sub_f32 v18, v19, v18 :: v_dual_sub_f32 v19, v22, v24
	v_dual_fmac_f32 v1, 0x3f737871, v20 :: v_dual_fmamk_f32 v52, v21, 0x3f737871, v50
	v_dual_fmac_f32 v56, 0x3f167918, v21 :: v_dual_sub_f32 v57, v24, v22
	s_delay_alu instid0(VALU_DEP_2) | instskip(SKIP_3) | instid1(VALU_DEP_4)
	v_dual_add_f32 v18, v18, v19 :: v_dual_fmac_f32 v1, 0xbf167918, v21
	v_fmac_f32_e32 v50, 0xbf737871, v21
	v_add_f32_e32 v38, v38, v72
	v_fmac_f32_e32 v52, 0x3f167918, v20
	v_fmac_f32_e32 v56, 0x3e9e377a, v18
	;; [unrolled: 1-line block ×3, first 2 shown]
	v_add_nc_u32_e32 v18, 0x400, v181
	v_add_f32_e32 v22, v54, v57
	v_fmac_f32_e32 v50, 0xbf167918, v20
	ds_store_2addr_b64 v181, v[12:13], v[27:28] offset0:85 offset1:102
	ds_store_2addr_b64 v181, v[14:15], v[31:32] offset0:170 offset1:187
	;; [unrolled: 1-line block ×3, first 2 shown]
	v_add_nc_u32_e32 v8, 0x400, v188
	ds_store_2addr_b64 v16, v[2:3], v[25:26] offset0:84 offset1:101
	ds_store_2addr_b64 v181, v[29:30], v[37:38] offset0:17 offset1:34
	;; [unrolled: 1-line block ×3, first 2 shown]
	v_add_nc_u32_e32 v2, 0x400, v183
	v_add_f32_e32 v54, v23, v24
	v_fmac_f32_e32 v52, 0x3e9e377a, v22
	v_fmac_f32_e32 v50, 0x3e9e377a, v22
	v_add_nc_u32_e32 v3, 0x400, v187
	ds_store_2addr_b64 v8, v[4:5], v[33:34] offset0:127 offset1:212
	ds_store_b64 v181, v[45:46] offset:408
	ds_store_2addr_b64 v183, v[43:44], v[47:48] offset0:85 offset1:170
	ds_store_2addr_b64 v2, v[6:7], v[41:42] offset0:127 offset1:212
	ds_store_b64 v181, v[53:54] offset:544
	ds_store_2addr_b64 v187, v[51:52], v[55:56] offset0:85 offset1:170
	ds_store_2addr_b64 v3, v[0:1], v[49:50] offset0:127 offset1:212
	global_wb scope:SCOPE_SE
	s_wait_dscnt 0x0
	s_barrier_signal -1
	s_barrier_wait -1
	global_inv scope:SCOPE_SE
	ds_load_2addr_b64 v[0:3], v178 offset1:25
	v_mad_co_u64_u32 v[26:27], null, s4, v150, 0
	s_wait_dscnt 0x0
	v_mul_f32_e32 v4, v180, v1
	v_dual_mul_f32 v5, v180, v0 :: v_dual_mul_f32 v6, v253, v3
	s_delay_alu instid0(VALU_DEP_2) | instskip(NEXT) | instid1(VALU_DEP_2)
	v_fmac_f32_e32 v4, v179, v0
	v_fma_f32 v0, v179, v1, -v5
	v_mul_f32_e32 v1, v253, v2
	s_delay_alu instid0(VALU_DEP_4) | instskip(NEXT) | instid1(VALU_DEP_4)
	v_fmac_f32_e32 v6, v252, v2
	v_cvt_f64_f32_e32 v[8:9], v4
	s_delay_alu instid0(VALU_DEP_4) | instskip(NEXT) | instid1(VALU_DEP_4)
	v_cvt_f64_f32_e32 v[10:11], v0
	v_fma_f32 v0, v252, v3, -v1
	s_delay_alu instid0(VALU_DEP_4) | instskip(NEXT) | instid1(VALU_DEP_2)
	v_cvt_f64_f32_e32 v[12:13], v6
	v_cvt_f64_f32_e32 v[14:15], v0
	ds_load_2addr_b64 v[0:3], v178 offset0:50 offset1:75
	ds_load_2addr_b64 v[4:7], v178 offset0:100 offset1:125
	s_wait_dscnt 0x0
	v_dual_mul_f32 v16, v167, v1 :: v_dual_mul_f32 v23, v169, v6
	v_mul_f32_e32 v17, v167, v0
	v_mul_f32_e32 v18, v171, v3
	s_delay_alu instid0(VALU_DEP_3) | instskip(NEXT) | instid1(VALU_DEP_4)
	v_dual_mul_f32 v19, v171, v2 :: v_dual_fmac_f32 v16, v166, v0
	v_fma_f32 v24, v168, v7, -v23
	s_delay_alu instid0(VALU_DEP_4) | instskip(NEXT) | instid1(VALU_DEP_4)
	v_fma_f32 v17, v166, v1, -v17
	v_fmac_f32_e32 v18, v170, v2
	v_mul_f32_e32 v20, v165, v5
	v_fma_f32 v19, v170, v3, -v19
	s_wait_alu 0xfffe
	v_mul_f64_e32 v[8:9], s[2:3], v[8:9]
	v_cvt_f64_f32_e32 v[24:25], v24
	v_mul_f64_e32 v[10:11], s[2:3], v[10:11]
	v_mul_f64_e32 v[12:13], s[2:3], v[12:13]
	v_cvt_f64_f32_e32 v[2:3], v18
	v_mul_f32_e32 v21, v165, v4
	v_mul_f32_e32 v22, v169, v7
	v_mul_f64_e32 v[0:1], s[2:3], v[14:15]
	v_cvt_f64_f32_e32 v[14:15], v16
	v_cvt_f64_f32_e32 v[16:17], v17
	v_fmac_f32_e32 v20, v164, v4
	v_fma_f32 v21, v164, v5, -v21
	v_fmac_f32_e32 v22, v168, v6
	v_cvt_f64_f32_e32 v[18:19], v19
	s_delay_alu instid0(VALU_DEP_4) | instskip(NEXT) | instid1(VALU_DEP_4)
	v_cvt_f64_f32_e32 v[4:5], v20
	v_cvt_f64_f32_e32 v[20:21], v21
	s_delay_alu instid0(VALU_DEP_4) | instskip(SKIP_2) | instid1(VALU_DEP_2)
	v_cvt_f64_f32_e32 v[6:7], v22
	v_mad_co_u64_u32 v[22:23], null, s6, v153, 0
	v_cvt_f32_f64_e32 v9, v[8:9]
	v_mad_co_u64_u32 v[28:29], null, s7, v153, v[23:24]
	v_mov_b32_e32 v8, v27
	v_cvt_f32_f64_e32 v10, v[10:11]
	v_cvt_f32_f64_e32 v11, v[12:13]
	v_mul_f64_e32 v[24:25], s[2:3], v[24:25]
	v_cvt_f32_f64_e32 v12, v[0:1]
	v_mul_f64_e32 v[0:1], s[2:3], v[14:15]
	v_mul_f64_e32 v[13:14], s[2:3], v[16:17]
	v_mov_b32_e32 v23, v28
	s_mul_u64 s[6:7], s[4:5], 25
	v_mul_f64_e32 v[18:19], s[2:3], v[18:19]
	s_wait_alu 0xfffe
	s_lshl_b64 s[6:7], s[6:7], 3
	v_mul_f64_e32 v[28:29], s[2:3], v[4:5]
	v_mul_f64_e32 v[20:21], s[2:3], v[20:21]
	v_mad_co_u64_u32 v[15:16], null, s5, v150, v[8:9]
	v_mul_f64_e32 v[16:17], s[2:3], v[2:3]
	v_lshlrev_b64_e32 v[2:3], 3, v[22:23]
	v_mul_f64_e32 v[22:23], s[2:3], v[6:7]
	s_delay_alu instid0(VALU_DEP_4) | instskip(NEXT) | instid1(VALU_DEP_3)
	v_mov_b32_e32 v27, v15
	v_add_co_u32 v2, s0, s10, v2
	s_wait_alu 0xf1ff
	s_delay_alu instid0(VALU_DEP_4) | instskip(NEXT) | instid1(VALU_DEP_3)
	v_add_co_ci_u32_e64 v3, s0, s11, v3, s0
	v_lshlrev_b64_e32 v[4:5], 3, v[26:27]
	v_cvt_f32_f64_e32 v0, v[0:1]
	v_cvt_f32_f64_e32 v1, v[13:14]
	;; [unrolled: 1-line block ×4, first 2 shown]
	v_add_co_u32 v26, s0, v2, v4
	s_wait_alu 0xf1ff
	v_add_co_ci_u32_e64 v27, s0, v3, v5, s0
	ds_load_2addr_b64 v[5:8], v178 offset0:150 offset1:175
	s_wait_alu 0xfffe
	v_add_co_u32 v30, s0, v26, s6
	s_wait_alu 0xf1ff
	v_add_co_ci_u32_e64 v31, s0, s7, v27, s0
	s_clause 0x1
	global_store_b64 v[26:27], v[9:10], off
	global_store_b64 v[30:31], v[11:12], off
	ds_load_2addr_b64 v[9:12], v178 offset0:200 offset1:225
	v_add_co_u32 v26, s0, v30, s6
	v_add_nc_u32_e32 v4, 0x400, v178
	s_wait_alu 0xf1ff
	v_add_co_ci_u32_e64 v27, s0, s7, v31, s0
	v_cvt_f32_f64_e32 v31, v[18:19]
	v_add_co_u32 v58, s0, v26, s6
	v_cvt_f32_f64_e32 v30, v[16:17]
	s_wait_alu 0xf1ff
	v_add_co_ci_u32_e64 v59, s0, s7, v27, s0
	s_wait_dscnt 0x1
	v_mul_f32_e32 v17, v155, v6
	v_mul_f32_e32 v13, v155, v5
	v_cvt_f32_f64_e32 v21, v[22:23]
	v_cvt_f32_f64_e32 v22, v[24:25]
	v_add_co_u32 v60, s0, v58, s6
	v_fmac_f32_e32 v17, v154, v5
	v_fma_f32 v5, v154, v6, -v13
	ds_load_2addr_b64 v[13:16], v4 offset0:122 offset1:147
	v_mul_f32_e32 v6, v157, v8
	s_wait_dscnt 0x1
	v_mul_f32_e32 v18, v147, v12
	v_cvt_f64_f32_e32 v[23:24], v17
	v_cvt_f64_f32_e32 v[32:33], v5
	v_mul_f32_e32 v5, v157, v7
	v_dual_mul_f32 v17, v163, v10 :: v_dual_fmac_f32 v6, v156, v7
	v_dual_mul_f32 v7, v163, v9 :: v_dual_fmac_f32 v18, v146, v11
	s_delay_alu instid0(VALU_DEP_3) | instskip(NEXT) | instid1(VALU_DEP_3)
	v_fma_f32 v5, v156, v8, -v5
	v_fmac_f32_e32 v17, v162, v9
	s_delay_alu instid0(VALU_DEP_4) | instskip(NEXT) | instid1(VALU_DEP_4)
	v_cvt_f64_f32_e32 v[34:35], v6
	v_fma_f32 v19, v162, v10, -v7
	v_cvt_f64_f32_e32 v[40:41], v18
	v_cvt_f64_f32_e32 v[9:10], v5
	ds_load_2addr_b64 v[5:8], v76 offset0:44 offset1:69
	v_cvt_f64_f32_e32 v[36:37], v17
	v_cvt_f64_f32_e32 v[38:39], v19
	ds_load_2addr_b64 v[17:20], v76 offset0:94 offset1:119
	s_wait_dscnt 0x2
	v_mul_f32_e32 v44, v152, v15
	v_mul_f32_e32 v11, v147, v11
	;; [unrolled: 1-line block ×3, first 2 shown]
	v_dual_mul_f32 v42, v149, v13 :: v_dual_mul_f32 v43, v152, v16
	s_delay_alu instid0(VALU_DEP_4)
	v_fma_f32 v46, v151, v16, -v44
	ds_load_b64 v[44:45], v178 offset:3200
	v_fma_f32 v11, v146, v12, -v11
	v_fmac_f32_e32 v25, v148, v13
	v_fma_f32 v42, v148, v14, -v42
	v_fmac_f32_e32 v43, v151, v15
	v_cvt_f64_f32_e32 v[46:47], v46
	v_cvt_f64_f32_e32 v[11:12], v11
	;; [unrolled: 1-line block ×5, first 2 shown]
	s_wait_dscnt 0x2
	v_mul_f32_e32 v25, v141, v6
	v_mul_f32_e32 v48, v141, v5
	s_wait_dscnt 0x1
	v_dual_mul_f32 v49, v145, v8 :: v_dual_mul_f32 v52, v143, v18
	s_delay_alu instid0(VALU_DEP_3) | instskip(NEXT) | instid1(VALU_DEP_3)
	v_dual_mul_f32 v50, v145, v7 :: v_dual_fmac_f32 v25, v140, v5
	v_fma_f32 v48, v140, v6, -v48
	v_mul_f32_e32 v54, v161, v19
	s_delay_alu instid0(VALU_DEP_4)
	v_fmac_f32_e32 v52, v142, v17
	v_mul_f32_e32 v17, v143, v17
	s_wait_dscnt 0x0
	v_mul_f32_e32 v56, v159, v44
	v_cvt_f64_f32_e32 v[5:6], v25
	v_mul_f32_e32 v25, v161, v20
	v_mul_f32_e32 v55, v159, v45
	v_fmac_f32_e32 v49, v144, v7
	v_fma_f32 v50, v144, v8, -v50
	v_fma_f32 v17, v142, v18, -v17
	v_fmac_f32_e32 v25, v160, v19
	v_fma_f32 v54, v160, v20, -v54
	v_fmac_f32_e32 v55, v158, v44
	v_fma_f32 v56, v158, v45, -v56
	v_cvt_f64_f32_e32 v[7:8], v48
	v_cvt_f64_f32_e32 v[48:49], v49
	;; [unrolled: 1-line block ×9, first 2 shown]
	v_mul_f64_e32 v[23:24], s[2:3], v[23:24]
	v_mul_f64_e32 v[32:33], s[2:3], v[32:33]
	;; [unrolled: 1-line block ×8, first 2 shown]
	s_wait_alu 0xf1ff
	v_add_co_ci_u32_e64 v61, s0, s7, v59, s0
	v_mul_f64_e32 v[13:14], s[2:3], v[13:14]
	v_mul_f64_e32 v[15:16], s[2:3], v[15:16]
	v_add_co_u32 v62, s0, v60, s6
	s_wait_alu 0xf1ff
	v_add_co_ci_u32_e64 v63, s0, s7, v61, s0
	s_clause 0x2
	global_store_b64 v[26:27], v[0:1], off
	global_store_b64 v[58:59], v[30:31], off
	;; [unrolled: 1-line block ×4, first 2 shown]
	v_mul_f64_e32 v[0:1], s[2:3], v[42:43]
	v_mul_f64_e32 v[21:22], s[2:3], v[46:47]
	;; [unrolled: 1-line block ×3, first 2 shown]
	v_add_co_u32 v31, s0, v62, s6
	v_mul_f64_e32 v[7:8], s[2:3], v[7:8]
	v_mul_f64_e32 v[25:26], s[2:3], v[48:49]
	;; [unrolled: 1-line block ×9, first 2 shown]
	v_cvt_f32_f64_e32 v23, v[23:24]
	v_cvt_f32_f64_e32 v24, v[32:33]
	;; [unrolled: 1-line block ×4, first 2 shown]
	s_wait_alu 0xf1ff
	v_add_co_ci_u32_e64 v32, s0, s7, v63, s0
	v_cvt_f32_f64_e32 v35, v[36:37]
	v_cvt_f32_f64_e32 v36, v[38:39]
	;; [unrolled: 1-line block ×4, first 2 shown]
	v_add_co_u32 v9, s0, v31, s6
	s_wait_alu 0xf1ff
	v_add_co_ci_u32_e64 v10, s0, s7, v32, s0
	v_cvt_f32_f64_e32 v11, v[13:14]
	v_cvt_f32_f64_e32 v12, v[15:16]
	v_add_co_u32 v37, s0, v9, s6
	s_wait_alu 0xf1ff
	v_add_co_ci_u32_e64 v38, s0, s7, v10, s0
	v_cvt_f32_f64_e32 v0, v[0:1]
	v_cvt_f32_f64_e32 v1, v[21:22]
	v_add_co_u32 v13, s0, v37, s6
	s_wait_alu 0xf1ff
	v_add_co_ci_u32_e64 v14, s0, s7, v38, s0
	v_cvt_f32_f64_e32 v5, v[5:6]
	s_delay_alu instid0(VALU_DEP_3)
	v_add_co_u32 v21, s0, v13, s6
	v_cvt_f32_f64_e32 v6, v[7:8]
	v_cvt_f32_f64_e32 v7, v[25:26]
	;; [unrolled: 1-line block ×7, first 2 shown]
	s_wait_alu 0xf1ff
	v_add_co_ci_u32_e64 v22, s0, s7, v14, s0
	v_cvt_f32_f64_e32 v19, v[44:45]
	v_cvt_f32_f64_e32 v20, v[46:47]
	global_store_b64 v[31:32], v[23:24], off
	v_add_co_u32 v23, s0, v21, s6
	s_wait_alu 0xf1ff
	v_add_co_ci_u32_e64 v24, s0, s7, v22, s0
	global_store_b64 v[9:10], v[33:34], off
	v_add_co_u32 v9, s0, v23, s6
	s_wait_alu 0xf1ff
	v_add_co_ci_u32_e64 v10, s0, s7, v24, s0
	;; [unrolled: 4-line block ×6, first 2 shown]
	global_store_b64 v[9:10], v[5:6], off
	global_store_b64 v[25:26], v[7:8], off
	;; [unrolled: 1-line block ×5, first 2 shown]
	s_and_b32 exec_lo, exec_lo, vcc_lo
	s_cbranch_execz .LBB0_15
; %bb.14:
	global_load_b64 v[5:6], v[136:137], off offset:136
	ds_load_b64 v[7:8], v181 offset:136
	v_mad_co_u64_u32 v[0:1], null, 0xfffff408, s4, v[0:1]
	s_mul_i32 s0, s5, 0xfffff408
	s_wait_alu 0xfffe
	s_sub_co_i32 s0, s0, s4
	s_wait_alu 0xfffe
	s_delay_alu instid0(VALU_DEP_1) | instskip(SKIP_4) | instid1(VALU_DEP_2)
	v_add_nc_u32_e32 v1, s0, v1
	s_mul_i32 s0, s5, 0x190
	s_wait_loadcnt_dscnt 0x0
	v_mul_f32_e32 v9, v8, v6
	v_mul_f32_e32 v6, v7, v6
	v_fmac_f32_e32 v9, v7, v5
	s_delay_alu instid0(VALU_DEP_2) | instskip(NEXT) | instid1(VALU_DEP_2)
	v_fma_f32 v7, v5, v8, -v6
	v_cvt_f64_f32_e32 v[5:6], v9
	s_delay_alu instid0(VALU_DEP_2) | instskip(NEXT) | instid1(VALU_DEP_2)
	v_cvt_f64_f32_e32 v[7:8], v7
	v_mul_f64_e32 v[5:6], s[2:3], v[5:6]
	s_delay_alu instid0(VALU_DEP_2) | instskip(NEXT) | instid1(VALU_DEP_2)
	v_mul_f64_e32 v[7:8], s[2:3], v[7:8]
	v_cvt_f32_f64_e32 v5, v[5:6]
	s_delay_alu instid0(VALU_DEP_2)
	v_cvt_f32_f64_e32 v6, v[7:8]
	global_store_b64 v[0:1], v[5:6], off
	global_load_b64 v[9:10], v[136:137], off offset:336
	ds_load_2addr_b64 v[5:8], v178 offset0:42 offset1:67
	v_add_co_u32 v0, vcc_lo, v0, s6
	s_wait_alu 0xfffd
	v_add_co_ci_u32_e32 v1, vcc_lo, s7, v1, vcc_lo
	s_wait_loadcnt_dscnt 0x0
	v_mul_f32_e32 v11, v6, v10
	v_mul_f32_e32 v10, v5, v10
	s_delay_alu instid0(VALU_DEP_2) | instskip(NEXT) | instid1(VALU_DEP_2)
	v_fmac_f32_e32 v11, v5, v9
	v_fma_f32 v9, v9, v6, -v10
	s_delay_alu instid0(VALU_DEP_2) | instskip(NEXT) | instid1(VALU_DEP_2)
	v_cvt_f64_f32_e32 v[5:6], v11
	v_cvt_f64_f32_e32 v[9:10], v9
	s_delay_alu instid0(VALU_DEP_2) | instskip(NEXT) | instid1(VALU_DEP_2)
	v_mul_f64_e32 v[5:6], s[2:3], v[5:6]
	v_mul_f64_e32 v[9:10], s[2:3], v[9:10]
	s_delay_alu instid0(VALU_DEP_2) | instskip(NEXT) | instid1(VALU_DEP_2)
	v_cvt_f32_f64_e32 v5, v[5:6]
	v_cvt_f32_f64_e32 v6, v[9:10]
	global_store_b64 v[0:1], v[5:6], off
	global_load_b64 v[5:6], v[136:137], off offset:536
	v_add_co_u32 v0, vcc_lo, v0, s6
	s_wait_alu 0xfffd
	v_add_co_ci_u32_e32 v1, vcc_lo, s7, v1, vcc_lo
	s_wait_loadcnt 0x0
	v_mul_f32_e32 v9, v8, v6
	v_mul_f32_e32 v6, v7, v6
	s_delay_alu instid0(VALU_DEP_2) | instskip(NEXT) | instid1(VALU_DEP_2)
	v_fmac_f32_e32 v9, v7, v5
	v_fma_f32 v7, v5, v8, -v6
	s_delay_alu instid0(VALU_DEP_2) | instskip(NEXT) | instid1(VALU_DEP_2)
	v_cvt_f64_f32_e32 v[5:6], v9
	v_cvt_f64_f32_e32 v[7:8], v7
	s_delay_alu instid0(VALU_DEP_2) | instskip(NEXT) | instid1(VALU_DEP_2)
	v_mul_f64_e32 v[5:6], s[2:3], v[5:6]
	v_mul_f64_e32 v[7:8], s[2:3], v[7:8]
	s_delay_alu instid0(VALU_DEP_2) | instskip(NEXT) | instid1(VALU_DEP_2)
	v_cvt_f32_f64_e32 v5, v[5:6]
	v_cvt_f32_f64_e32 v6, v[7:8]
	global_store_b64 v[0:1], v[5:6], off
	global_load_b64 v[9:10], v[136:137], off offset:736
	ds_load_2addr_b64 v[5:8], v178 offset0:92 offset1:117
	v_add_co_u32 v0, vcc_lo, v0, s6
	s_wait_alu 0xfffd
	v_add_co_ci_u32_e32 v1, vcc_lo, s7, v1, vcc_lo
	s_wait_loadcnt_dscnt 0x0
	v_mul_f32_e32 v11, v6, v10
	v_mul_f32_e32 v10, v5, v10
	s_delay_alu instid0(VALU_DEP_2) | instskip(NEXT) | instid1(VALU_DEP_2)
	v_fmac_f32_e32 v11, v5, v9
	v_fma_f32 v9, v9, v6, -v10
	s_delay_alu instid0(VALU_DEP_2) | instskip(NEXT) | instid1(VALU_DEP_2)
	v_cvt_f64_f32_e32 v[5:6], v11
	v_cvt_f64_f32_e32 v[9:10], v9
	s_delay_alu instid0(VALU_DEP_2) | instskip(NEXT) | instid1(VALU_DEP_2)
	v_mul_f64_e32 v[5:6], s[2:3], v[5:6]
	v_mul_f64_e32 v[9:10], s[2:3], v[9:10]
	s_delay_alu instid0(VALU_DEP_2) | instskip(NEXT) | instid1(VALU_DEP_2)
	v_cvt_f32_f64_e32 v5, v[5:6]
	v_cvt_f32_f64_e32 v6, v[9:10]
	global_store_b64 v[0:1], v[5:6], off
	global_load_b64 v[5:6], v[136:137], off offset:936
	v_add_co_u32 v0, vcc_lo, v0, s6
	s_wait_alu 0xfffd
	v_add_co_ci_u32_e32 v1, vcc_lo, s7, v1, vcc_lo
	s_wait_loadcnt 0x0
	v_mul_f32_e32 v9, v8, v6
	v_mul_f32_e32 v6, v7, v6
	s_delay_alu instid0(VALU_DEP_2) | instskip(NEXT) | instid1(VALU_DEP_2)
	v_fmac_f32_e32 v9, v7, v5
	v_fma_f32 v7, v5, v8, -v6
	s_delay_alu instid0(VALU_DEP_2) | instskip(NEXT) | instid1(VALU_DEP_2)
	v_cvt_f64_f32_e32 v[5:6], v9
	v_cvt_f64_f32_e32 v[7:8], v7
	s_delay_alu instid0(VALU_DEP_2) | instskip(NEXT) | instid1(VALU_DEP_2)
	v_mul_f64_e32 v[5:6], s[2:3], v[5:6]
	v_mul_f64_e32 v[7:8], s[2:3], v[7:8]
	s_delay_alu instid0(VALU_DEP_2) | instskip(NEXT) | instid1(VALU_DEP_2)
	v_cvt_f32_f64_e32 v5, v[5:6]
	;; [unrolled: 41-line block ×3, first 2 shown]
	v_cvt_f32_f64_e32 v6, v[7:8]
	global_store_b64 v[0:1], v[5:6], off
	global_load_b64 v[9:10], v[136:137], off offset:1536
	ds_load_2addr_b64 v[5:8], v178 offset0:192 offset1:217
	v_mad_co_u64_u32 v[0:1], null, 0x190, s4, v[0:1]
	s_wait_alu 0xfffe
	s_delay_alu instid0(VALU_DEP_1) | instskip(SKIP_3) | instid1(VALU_DEP_2)
	v_add_nc_u32_e32 v1, s0, v1
	s_wait_loadcnt_dscnt 0x0
	v_mul_f32_e32 v11, v6, v10
	v_mul_f32_e32 v10, v5, v10
	v_fmac_f32_e32 v11, v5, v9
	s_delay_alu instid0(VALU_DEP_2) | instskip(NEXT) | instid1(VALU_DEP_2)
	v_fma_f32 v9, v9, v6, -v10
	v_cvt_f64_f32_e32 v[5:6], v11
	s_delay_alu instid0(VALU_DEP_2) | instskip(SKIP_1) | instid1(VALU_DEP_3)
	v_cvt_f64_f32_e32 v[9:10], v9
	v_mad_co_u64_u32 v[11:12], null, s4, v138, 0
	v_mul_f64_e32 v[5:6], s[2:3], v[5:6]
	s_delay_alu instid0(VALU_DEP_3) | instskip(NEXT) | instid1(VALU_DEP_2)
	v_mul_f64_e32 v[9:10], s[2:3], v[9:10]
	v_cvt_f32_f64_e32 v5, v[5:6]
	s_delay_alu instid0(VALU_DEP_2) | instskip(SKIP_1) | instid1(VALU_DEP_1)
	v_cvt_f32_f64_e32 v6, v[9:10]
	v_mov_b32_e32 v9, v12
	v_mad_co_u64_u32 v[9:10], null, s5, v138, v[9:10]
	s_delay_alu instid0(VALU_DEP_1) | instskip(NEXT) | instid1(VALU_DEP_1)
	v_mov_b32_e32 v12, v9
	v_lshlrev_b64_e32 v[9:10], 3, v[11:12]
	s_delay_alu instid0(VALU_DEP_1) | instskip(SKIP_1) | instid1(VALU_DEP_2)
	v_add_co_u32 v9, vcc_lo, v2, v9
	s_wait_alu 0xfffd
	v_add_co_ci_u32_e32 v10, vcc_lo, v3, v10, vcc_lo
	global_store_b64 v[9:10], v[5:6], off
	global_load_b64 v[5:6], v[136:137], off offset:1736
	s_wait_loadcnt 0x0
	v_mul_f32_e32 v9, v8, v6
	v_mul_f32_e32 v6, v7, v6
	s_delay_alu instid0(VALU_DEP_2) | instskip(NEXT) | instid1(VALU_DEP_2)
	v_fmac_f32_e32 v9, v7, v5
	v_fma_f32 v7, v5, v8, -v6
	s_delay_alu instid0(VALU_DEP_2) | instskip(NEXT) | instid1(VALU_DEP_2)
	v_cvt_f64_f32_e32 v[5:6], v9
	v_cvt_f64_f32_e32 v[7:8], v7
	s_delay_alu instid0(VALU_DEP_2) | instskip(NEXT) | instid1(VALU_DEP_2)
	v_mul_f64_e32 v[5:6], s[2:3], v[5:6]
	v_mul_f64_e32 v[7:8], s[2:3], v[7:8]
	s_delay_alu instid0(VALU_DEP_2) | instskip(NEXT) | instid1(VALU_DEP_2)
	v_cvt_f32_f64_e32 v5, v[5:6]
	v_cvt_f32_f64_e32 v6, v[7:8]
	global_store_b64 v[0:1], v[5:6], off
	global_load_b64 v[8:9], v[136:137], off offset:1936
	ds_load_2addr_b64 v[4:7], v4 offset0:114 offset1:139
	v_add_co_u32 v0, vcc_lo, v0, s6
	s_wait_alu 0xfffd
	v_add_co_ci_u32_e32 v1, vcc_lo, s7, v1, vcc_lo
	s_wait_loadcnt_dscnt 0x0
	v_mul_f32_e32 v10, v5, v9
	v_mul_f32_e32 v9, v4, v9
	s_delay_alu instid0(VALU_DEP_2) | instskip(NEXT) | instid1(VALU_DEP_2)
	v_fmac_f32_e32 v10, v4, v8
	v_fma_f32 v8, v8, v5, -v9
	s_delay_alu instid0(VALU_DEP_2) | instskip(NEXT) | instid1(VALU_DEP_2)
	v_cvt_f64_f32_e32 v[4:5], v10
	v_cvt_f64_f32_e32 v[8:9], v8
	s_delay_alu instid0(VALU_DEP_2) | instskip(NEXT) | instid1(VALU_DEP_2)
	v_mul_f64_e32 v[4:5], s[2:3], v[4:5]
	v_mul_f64_e32 v[8:9], s[2:3], v[8:9]
	s_delay_alu instid0(VALU_DEP_2) | instskip(NEXT) | instid1(VALU_DEP_2)
	v_cvt_f32_f64_e32 v4, v[4:5]
	v_cvt_f32_f64_e32 v5, v[8:9]
	global_store_b64 v[0:1], v[4:5], off
	global_load_b64 v[4:5], v[136:137], off offset:2136
	v_add_co_u32 v0, vcc_lo, v0, s6
	s_wait_alu 0xfffd
	v_add_co_ci_u32_e32 v1, vcc_lo, s7, v1, vcc_lo
	s_wait_loadcnt 0x0
	v_mul_f32_e32 v8, v7, v5
	v_mul_f32_e32 v5, v6, v5
	s_delay_alu instid0(VALU_DEP_2) | instskip(NEXT) | instid1(VALU_DEP_2)
	v_fmac_f32_e32 v8, v6, v4
	v_fma_f32 v6, v4, v7, -v5
	s_delay_alu instid0(VALU_DEP_2) | instskip(NEXT) | instid1(VALU_DEP_2)
	v_cvt_f64_f32_e32 v[4:5], v8
	v_cvt_f64_f32_e32 v[6:7], v6
	s_delay_alu instid0(VALU_DEP_2) | instskip(NEXT) | instid1(VALU_DEP_2)
	v_mul_f64_e32 v[4:5], s[2:3], v[4:5]
	v_mul_f64_e32 v[6:7], s[2:3], v[6:7]
	s_delay_alu instid0(VALU_DEP_2) | instskip(NEXT) | instid1(VALU_DEP_2)
	v_cvt_f32_f64_e32 v4, v[4:5]
	v_cvt_f32_f64_e32 v5, v[6:7]
	global_store_b64 v[0:1], v[4:5], off
	global_load_b64 v[8:9], v[136:137], off offset:2336
	ds_load_2addr_b64 v[4:7], v76 offset0:36 offset1:61
	v_add_co_u32 v0, vcc_lo, v0, s6
	s_wait_alu 0xfffd
	v_add_co_ci_u32_e32 v1, vcc_lo, s7, v1, vcc_lo
	s_wait_loadcnt_dscnt 0x0
	v_mul_f32_e32 v10, v5, v9
	v_mul_f32_e32 v9, v4, v9
	s_delay_alu instid0(VALU_DEP_2) | instskip(NEXT) | instid1(VALU_DEP_2)
	v_fmac_f32_e32 v10, v4, v8
	v_fma_f32 v8, v8, v5, -v9
	s_delay_alu instid0(VALU_DEP_2) | instskip(NEXT) | instid1(VALU_DEP_2)
	v_cvt_f64_f32_e32 v[4:5], v10
	v_cvt_f64_f32_e32 v[8:9], v8
	s_delay_alu instid0(VALU_DEP_2) | instskip(NEXT) | instid1(VALU_DEP_2)
	v_mul_f64_e32 v[4:5], s[2:3], v[4:5]
	v_mul_f64_e32 v[8:9], s[2:3], v[8:9]
	s_delay_alu instid0(VALU_DEP_2) | instskip(NEXT) | instid1(VALU_DEP_2)
	v_cvt_f32_f64_e32 v4, v[4:5]
	v_cvt_f32_f64_e32 v5, v[8:9]
	global_store_b64 v[0:1], v[4:5], off
	global_load_b64 v[4:5], v[136:137], off offset:2536
	v_add_co_u32 v0, vcc_lo, v0, s6
	s_wait_alu 0xfffd
	v_add_co_ci_u32_e32 v1, vcc_lo, s7, v1, vcc_lo
	;; [unrolled: 41-line block ×3, first 2 shown]
	s_wait_loadcnt 0x0
	v_mul_f32_e32 v8, v7, v5
	v_mul_f32_e32 v5, v6, v5
	s_delay_alu instid0(VALU_DEP_2) | instskip(NEXT) | instid1(VALU_DEP_2)
	v_fmac_f32_e32 v8, v6, v4
	v_fma_f32 v6, v4, v7, -v5
	s_delay_alu instid0(VALU_DEP_2) | instskip(NEXT) | instid1(VALU_DEP_2)
	v_cvt_f64_f32_e32 v[4:5], v8
	v_cvt_f64_f32_e32 v[6:7], v6
	s_delay_alu instid0(VALU_DEP_2) | instskip(NEXT) | instid1(VALU_DEP_2)
	v_mul_f64_e32 v[4:5], s[2:3], v[4:5]
	v_mul_f64_e32 v[6:7], s[2:3], v[6:7]
	s_delay_alu instid0(VALU_DEP_2) | instskip(NEXT) | instid1(VALU_DEP_2)
	v_cvt_f32_f64_e32 v4, v[4:5]
	v_cvt_f32_f64_e32 v5, v[6:7]
	global_store_b64 v[0:1], v[4:5], off
	global_load_b64 v[8:9], v[136:137], off offset:3136
	ds_load_2addr_b64 v[4:7], v76 offset0:136 offset1:161
	v_mad_co_u64_u32 v[0:1], null, 0x190, s4, v[0:1]
	s_delay_alu instid0(VALU_DEP_1) | instskip(SKIP_3) | instid1(VALU_DEP_2)
	v_add_nc_u32_e32 v1, s0, v1
	s_wait_loadcnt_dscnt 0x0
	v_mul_f32_e32 v10, v5, v9
	v_mul_f32_e32 v9, v4, v9
	v_fmac_f32_e32 v10, v4, v8
	s_delay_alu instid0(VALU_DEP_2) | instskip(NEXT) | instid1(VALU_DEP_2)
	v_fma_f32 v8, v8, v5, -v9
	v_cvt_f64_f32_e32 v[4:5], v10
	s_delay_alu instid0(VALU_DEP_2) | instskip(SKIP_1) | instid1(VALU_DEP_3)
	v_cvt_f64_f32_e32 v[8:9], v8
	v_mad_co_u64_u32 v[10:11], null, s4, v139, 0
	v_mul_f64_e32 v[4:5], s[2:3], v[4:5]
	s_delay_alu instid0(VALU_DEP_3) | instskip(NEXT) | instid1(VALU_DEP_2)
	v_mul_f64_e32 v[8:9], s[2:3], v[8:9]
	v_cvt_f32_f64_e32 v4, v[4:5]
	s_delay_alu instid0(VALU_DEP_2) | instskip(SKIP_1) | instid1(VALU_DEP_1)
	v_cvt_f32_f64_e32 v5, v[8:9]
	v_mov_b32_e32 v8, v11
	v_mad_co_u64_u32 v[8:9], null, s5, v139, v[8:9]
	s_delay_alu instid0(VALU_DEP_1) | instskip(NEXT) | instid1(VALU_DEP_1)
	v_mov_b32_e32 v11, v8
	v_lshlrev_b64_e32 v[8:9], 3, v[10:11]
	s_delay_alu instid0(VALU_DEP_1) | instskip(SKIP_1) | instid1(VALU_DEP_2)
	v_add_co_u32 v2, vcc_lo, v2, v8
	s_wait_alu 0xfffd
	v_add_co_ci_u32_e32 v3, vcc_lo, v3, v9, vcc_lo
	global_store_b64 v[2:3], v[4:5], off
	global_load_b64 v[2:3], v[136:137], off offset:3336
	s_wait_loadcnt 0x0
	v_mul_f32_e32 v4, v7, v3
	v_mul_f32_e32 v3, v6, v3
	s_delay_alu instid0(VALU_DEP_2) | instskip(NEXT) | instid1(VALU_DEP_2)
	v_fmac_f32_e32 v4, v6, v2
	v_fma_f32 v5, v2, v7, -v3
	s_delay_alu instid0(VALU_DEP_2) | instskip(NEXT) | instid1(VALU_DEP_2)
	v_cvt_f64_f32_e32 v[2:3], v4
	v_cvt_f64_f32_e32 v[4:5], v5
	s_delay_alu instid0(VALU_DEP_2) | instskip(NEXT) | instid1(VALU_DEP_2)
	v_mul_f64_e32 v[2:3], s[2:3], v[2:3]
	v_mul_f64_e32 v[4:5], s[2:3], v[4:5]
	s_delay_alu instid0(VALU_DEP_2) | instskip(NEXT) | instid1(VALU_DEP_2)
	v_cvt_f32_f64_e32 v2, v[2:3]
	v_cvt_f32_f64_e32 v3, v[4:5]
	global_store_b64 v[0:1], v[2:3], off
.LBB0_15:
	s_nop 0
	s_sendmsg sendmsg(MSG_DEALLOC_VGPRS)
	s_endpgm
	.section	.rodata,"a",@progbits
	.p2align	6, 0x0
	.amdhsa_kernel bluestein_single_fwd_len425_dim1_sp_op_CI_CI
		.amdhsa_group_segment_fixed_size 10200
		.amdhsa_private_segment_fixed_size 148
		.amdhsa_kernarg_size 104
		.amdhsa_user_sgpr_count 2
		.amdhsa_user_sgpr_dispatch_ptr 0
		.amdhsa_user_sgpr_queue_ptr 0
		.amdhsa_user_sgpr_kernarg_segment_ptr 1
		.amdhsa_user_sgpr_dispatch_id 0
		.amdhsa_user_sgpr_private_segment_size 0
		.amdhsa_wavefront_size32 1
		.amdhsa_uses_dynamic_stack 0
		.amdhsa_enable_private_segment 1
		.amdhsa_system_sgpr_workgroup_id_x 1
		.amdhsa_system_sgpr_workgroup_id_y 0
		.amdhsa_system_sgpr_workgroup_id_z 0
		.amdhsa_system_sgpr_workgroup_info 0
		.amdhsa_system_vgpr_workitem_id 0
		.amdhsa_next_free_vgpr 256
		.amdhsa_next_free_sgpr 16
		.amdhsa_reserve_vcc 1
		.amdhsa_float_round_mode_32 0
		.amdhsa_float_round_mode_16_64 0
		.amdhsa_float_denorm_mode_32 3
		.amdhsa_float_denorm_mode_16_64 3
		.amdhsa_fp16_overflow 0
		.amdhsa_workgroup_processor_mode 1
		.amdhsa_memory_ordered 1
		.amdhsa_forward_progress 0
		.amdhsa_round_robin_scheduling 0
		.amdhsa_exception_fp_ieee_invalid_op 0
		.amdhsa_exception_fp_denorm_src 0
		.amdhsa_exception_fp_ieee_div_zero 0
		.amdhsa_exception_fp_ieee_overflow 0
		.amdhsa_exception_fp_ieee_underflow 0
		.amdhsa_exception_fp_ieee_inexact 0
		.amdhsa_exception_int_div_zero 0
	.end_amdhsa_kernel
	.text
.Lfunc_end0:
	.size	bluestein_single_fwd_len425_dim1_sp_op_CI_CI, .Lfunc_end0-bluestein_single_fwd_len425_dim1_sp_op_CI_CI
                                        ; -- End function
	.section	.AMDGPU.csdata,"",@progbits
; Kernel info:
; codeLenInByte = 41620
; NumSgprs: 18
; NumVgprs: 256
; ScratchSize: 148
; MemoryBound: 0
; FloatMode: 240
; IeeeMode: 1
; LDSByteSize: 10200 bytes/workgroup (compile time only)
; SGPRBlocks: 2
; VGPRBlocks: 31
; NumSGPRsForWavesPerEU: 18
; NumVGPRsForWavesPerEU: 256
; Occupancy: 5
; WaveLimiterHint : 1
; COMPUTE_PGM_RSRC2:SCRATCH_EN: 1
; COMPUTE_PGM_RSRC2:USER_SGPR: 2
; COMPUTE_PGM_RSRC2:TRAP_HANDLER: 0
; COMPUTE_PGM_RSRC2:TGID_X_EN: 1
; COMPUTE_PGM_RSRC2:TGID_Y_EN: 0
; COMPUTE_PGM_RSRC2:TGID_Z_EN: 0
; COMPUTE_PGM_RSRC2:TIDIG_COMP_CNT: 0
	.text
	.p2alignl 7, 3214868480
	.fill 96, 4, 3214868480
	.type	__hip_cuid_6d34cedd259be818,@object ; @__hip_cuid_6d34cedd259be818
	.section	.bss,"aw",@nobits
	.globl	__hip_cuid_6d34cedd259be818
__hip_cuid_6d34cedd259be818:
	.byte	0                               ; 0x0
	.size	__hip_cuid_6d34cedd259be818, 1

	.ident	"AMD clang version 19.0.0git (https://github.com/RadeonOpenCompute/llvm-project roc-6.4.0 25133 c7fe45cf4b819c5991fe208aaa96edf142730f1d)"
	.section	".note.GNU-stack","",@progbits
	.addrsig
	.addrsig_sym __hip_cuid_6d34cedd259be818
	.amdgpu_metadata
---
amdhsa.kernels:
  - .args:
      - .actual_access:  read_only
        .address_space:  global
        .offset:         0
        .size:           8
        .value_kind:     global_buffer
      - .actual_access:  read_only
        .address_space:  global
        .offset:         8
        .size:           8
        .value_kind:     global_buffer
      - .actual_access:  read_only
        .address_space:  global
        .offset:         16
        .size:           8
        .value_kind:     global_buffer
      - .actual_access:  read_only
        .address_space:  global
        .offset:         24
        .size:           8
        .value_kind:     global_buffer
      - .actual_access:  read_only
        .address_space:  global
        .offset:         32
        .size:           8
        .value_kind:     global_buffer
      - .offset:         40
        .size:           8
        .value_kind:     by_value
      - .address_space:  global
        .offset:         48
        .size:           8
        .value_kind:     global_buffer
      - .address_space:  global
        .offset:         56
        .size:           8
        .value_kind:     global_buffer
      - .address_space:  global
        .offset:         64
        .size:           8
        .value_kind:     global_buffer
      - .address_space:  global
        .offset:         72
        .size:           8
        .value_kind:     global_buffer
      - .offset:         80
        .size:           4
        .value_kind:     by_value
      - .address_space:  global
        .offset:         88
        .size:           8
        .value_kind:     global_buffer
      - .address_space:  global
        .offset:         96
        .size:           8
        .value_kind:     global_buffer
    .group_segment_fixed_size: 10200
    .kernarg_segment_align: 8
    .kernarg_segment_size: 104
    .language:       OpenCL C
    .language_version:
      - 2
      - 0
    .max_flat_workgroup_size: 51
    .name:           bluestein_single_fwd_len425_dim1_sp_op_CI_CI
    .private_segment_fixed_size: 148
    .sgpr_count:     18
    .sgpr_spill_count: 0
    .symbol:         bluestein_single_fwd_len425_dim1_sp_op_CI_CI.kd
    .uniform_work_group_size: 1
    .uses_dynamic_stack: false
    .vgpr_count:     256
    .vgpr_spill_count: 36
    .wavefront_size: 32
    .workgroup_processor_mode: 1
amdhsa.target:   amdgcn-amd-amdhsa--gfx1201
amdhsa.version:
  - 1
  - 2
...

	.end_amdgpu_metadata
